;; amdgpu-corpus repo=ROCm/rocFFT kind=compiled arch=gfx1100 opt=O3
	.text
	.amdgcn_target "amdgcn-amd-amdhsa--gfx1100"
	.amdhsa_code_object_version 6
	.protected	bluestein_single_fwd_len6561_dim1_sp_op_CI_CI ; -- Begin function bluestein_single_fwd_len6561_dim1_sp_op_CI_CI
	.globl	bluestein_single_fwd_len6561_dim1_sp_op_CI_CI
	.p2align	8
	.type	bluestein_single_fwd_len6561_dim1_sp_op_CI_CI,@function
bluestein_single_fwd_len6561_dim1_sp_op_CI_CI: ; @bluestein_single_fwd_len6561_dim1_sp_op_CI_CI
; %bb.0:
	s_load_b128 s[16:19], s[0:1], 0x28
	v_mul_u32_u24_e32 v1, 0x10e, v0
	s_mov_b32 s2, exec_lo
	v_mov_b32_e32 v5, 0
	s_delay_alu instid0(VALU_DEP_2) | instskip(NEXT) | instid1(VALU_DEP_1)
	v_lshrrev_b32_e32 v1, 16, v1
	v_add_nc_u32_e32 v4, s15, v1
	s_waitcnt lgkmcnt(0)
	s_delay_alu instid0(VALU_DEP_1)
	v_cmpx_gt_u64_e64 s[16:17], v[4:5]
	s_cbranch_execz .LBB0_2
; %bb.1:
	s_clause 0x1
	s_load_b128 s[4:7], s[0:1], 0x18
	s_load_b128 s[8:11], s[0:1], 0x0
	v_mul_lo_u16 v1, 0xf3, v1
	v_mov_b32_e32 v8, v4
	s_load_b64 s[0:1], s[0:1], 0x38
	s_delay_alu instid0(VALU_DEP_2)
	v_sub_nc_u16 v65, v0, v1
	scratch_store_b64 off, v[8:9], off      ; 8-byte Folded Spill
	v_and_b32_e32 v0, 0xffff, v65
	v_and_b32_e32 v90, 0xff, v65
	s_waitcnt lgkmcnt(0)
	s_load_b128 s[12:15], s[4:5], 0x0
	s_waitcnt lgkmcnt(0)
	v_mad_u64_u32 v[2:3], null, s14, v4, 0
	v_mad_u64_u32 v[4:5], null, s12, v0, 0
	s_mul_i32 s3, s13, 0x4458
	s_mul_hi_u32 s4, s12, 0x4458
	s_mul_hi_u32 s5, s12, 0xffff7ee8
	s_add_i32 s3, s4, s3
	s_mul_i32 s4, s12, 0xffff7ee8
	s_sub_i32 s5, s5, s12
	s_delay_alu instid0(VALU_DEP_1) | instskip(NEXT) | instid1(VALU_DEP_1)
	v_mad_u64_u32 v[6:7], null, s15, v8, v[3:4]
	v_dual_mov_b32 v3, v6 :: v_dual_mov_b32 v54, v0
	s_delay_alu instid0(VALU_DEP_1) | instskip(NEXT) | instid1(VALU_DEP_2)
	v_lshlrev_b64 v[2:3], 3, v[2:3]
	v_mad_u64_u32 v[7:8], null, s13, v54, v[5:6]
	v_lshlrev_b32_e32 v64, 3, v0
	s_mul_i32 s13, s13, 0xffff7ee8
	s_delay_alu instid0(SALU_CYCLE_1) | instskip(NEXT) | instid1(VALU_DEP_2)
	s_add_i32 s5, s5, s13
	v_mov_b32_e32 v5, v7
	s_delay_alu instid0(VALU_DEP_2) | instskip(NEXT) | instid1(VALU_DEP_1)
	v_add_co_u32 v88, s2, s8, v64
	v_add_co_ci_u32_e64 v76, null, s9, 0, s2
	s_delay_alu instid0(VALU_DEP_3) | instskip(NEXT) | instid1(VALU_DEP_3)
	v_lshlrev_b64 v[4:5], 3, v[4:5]
	v_add_co_u32 v0, vcc_lo, 0x8000, v88
	s_delay_alu instid0(VALU_DEP_3)
	v_add_co_ci_u32_e32 v1, vcc_lo, 0, v76, vcc_lo
	v_add_co_u32 v10, vcc_lo, 0x4000, v88
	v_add_co_ci_u32_e32 v11, vcc_lo, 0, v76, vcc_lo
	v_add_co_u32 v2, vcc_lo, s18, v2
	v_add_co_ci_u32_e32 v3, vcc_lo, s19, v3, vcc_lo
	s_mul_i32 s2, s12, 0x4458
	s_delay_alu instid0(VALU_DEP_2) | instskip(NEXT) | instid1(VALU_DEP_2)
	v_add_co_u32 v2, vcc_lo, v2, v4
	v_add_co_ci_u32_e32 v3, vcc_lo, v3, v5, vcc_lo
	s_clause 0x1
	global_load_b64 v[40:41], v64, s[8:9]
	global_load_b64 v[38:39], v64, s[8:9] offset:1944
	v_add_co_u32 v4, vcc_lo, v2, s2
	v_add_co_ci_u32_e32 v5, vcc_lo, s3, v3, vcc_lo
	s_clause 0x1
	global_load_b64 v[34:35], v[0:1], off offset:2224
	global_load_b64 v[32:33], v[10:11], off offset:1112
	v_add_co_u32 v8, vcc_lo, v4, s2
	v_add_co_ci_u32_e32 v9, vcc_lo, s3, v5, vcc_lo
	global_load_b64 v[6:7], v[2:3], off
	v_add_co_u32 v14, vcc_lo, v8, s4
	v_add_co_ci_u32_e32 v15, vcc_lo, s5, v9, vcc_lo
	s_clause 0x1
	global_load_b64 v[2:3], v[4:5], off
	global_load_b64 v[4:5], v[8:9], off
	v_add_co_u32 v8, vcc_lo, 0x5000, v88
	v_add_co_ci_u32_e32 v9, vcc_lo, 0, v76, vcc_lo
	v_add_co_u32 v12, vcc_lo, v14, s2
	v_add_co_ci_u32_e32 v13, vcc_lo, s3, v15, vcc_lo
	global_load_b64 v[14:15], v[14:15], off
	v_add_co_u32 v16, vcc_lo, v12, s2
	v_add_co_ci_u32_e32 v17, vcc_lo, s3, v13, vcc_lo
	global_load_b64 v[12:13], v[12:13], off
	global_load_b64 v[50:51], v[10:11], off offset:3056
	v_add_co_u32 v10, vcc_lo, v16, s4
	v_add_co_ci_u32_e32 v11, vcc_lo, s5, v17, vcc_lo
	v_add_nc_u32_e32 v236, 0x4bc0, v64
	s_delay_alu instid0(VALU_DEP_3) | instskip(NEXT) | instid1(VALU_DEP_3)
	v_add_co_u32 v18, vcc_lo, v10, s2
	v_add_co_ci_u32_e32 v19, vcc_lo, s3, v11, vcc_lo
	global_load_b64 v[46:47], v[8:9], off offset:904
	global_load_b64 v[20:21], v[18:19], off
	v_add_co_u32 v22, vcc_lo, 0x9000, v88
	v_add_co_ci_u32_e32 v23, vcc_lo, 0, v76, vcc_lo
	v_add_co_u32 v18, vcc_lo, v18, s2
	v_add_co_ci_u32_e32 v19, vcc_lo, s3, v19, vcc_lo
	global_load_b64 v[55:56], v[22:23], off offset:72
	global_load_b64 v[16:17], v[16:17], off
	global_load_b64 v[44:45], v[22:23], off offset:2016
	global_load_b64 v[24:25], v[18:19], off
	global_load_b64 v[52:53], v64, s[8:9] offset:3888
	global_load_b64 v[10:11], v[10:11], off
	v_add_co_u32 v26, vcc_lo, 0x1000, v88
	v_add_co_ci_u32_e32 v27, vcc_lo, 0, v76, vcc_lo
	v_add_co_u32 v18, vcc_lo, v18, s4
	v_add_co_ci_u32_e32 v19, vcc_lo, s5, v19, vcc_lo
	global_load_b64 v[48:49], v[26:27], off offset:1736
	global_load_b64 v[28:29], v[18:19], off
	s_clause 0x1
	global_load_b64 v[42:43], v[0:1], off offset:280
	global_load_b64 v[57:58], v[8:9], off offset:2848
	v_add_co_u32 v30, vcc_lo, 0x6000, v88
	v_add_co_ci_u32_e32 v31, vcc_lo, 0, v76, vcc_lo
	v_add_co_u32 v18, vcc_lo, v18, s2
	v_add_co_ci_u32_e32 v19, vcc_lo, s3, v19, vcc_lo
	v_add_nc_u32_e32 v59, 0x9000, v64
	v_add_nc_u32_e32 v218, 0x1e00, v64
	;; [unrolled: 1-line block ×3, first 2 shown]
	global_load_b64 v[8:9], v[18:19], off
	s_waitcnt vmcnt(22)
	scratch_store_b64 off, v[40:41], off offset:216 ; 8-byte Folded Spill
	s_waitcnt vmcnt(21)
	scratch_store_b64 off, v[38:39], off offset:208 ; 8-byte Folded Spill
	s_waitcnt vmcnt(19)
	v_dual_mov_b32 v37, v33 :: v_dual_mov_b32 v36, v32
	s_waitcnt vmcnt(18)
	v_mul_f32_e32 v1, v6, v41
	v_mul_f32_e32 v0, v7, v41
	v_add_co_u32 v136, null, 0xf3, v54
	v_add_co_u32 v234, null, 0x1e6, v54
	s_waitcnt vmcnt(17)
	v_mul_f32_e32 v33, v2, v37
	v_fma_f32 v1, v7, v40, -v1
	v_mul_f32_e32 v32, v3, v37
	scratch_store_b64 off, v[36:37], off offset:16 ; 8-byte Folded Spill
	v_add_co_u32 v206, null, 0x2d9, v54
	v_fma_f32 v33, v3, v36, -v33
	v_fmac_f32_e32 v32, v2, v36
	v_add_co_u32 v211, null, 0x4bf, v54
	s_waitcnt vmcnt(15)
	v_mul_f32_e32 v3, v14, v39
	v_dual_fmac_f32 v0, v6, v40 :: v_dual_mov_b32 v41, v35
	v_mov_b32_e32 v40, v34
	v_add_co_u32 v34, vcc_lo, 0xa000, v88
	v_add_co_ci_u32_e32 v35, vcc_lo, 0, v76, vcc_lo
	s_delay_alu instid0(VALU_DEP_4)
	v_mul_f32_e32 v7, v4, v41
	v_mul_f32_e32 v6, v5, v41
	;; [unrolled: 1-line block ×3, first 2 shown]
	v_fma_f32 v3, v15, v38, -v3
	s_waitcnt vmcnt(13)
	v_mul_f32_e32 v15, v12, v51
	v_fma_f32 v7, v5, v40, -v7
	v_fmac_f32_e32 v6, v4, v40
	v_add_co_u32 v4, vcc_lo, v18, s2
	v_add_co_ci_u32_e32 v5, vcc_lo, s3, v19, vcc_lo
	v_fmac_f32_e32 v2, v14, v38
	v_mul_f32_e32 v14, v13, v51
	s_delay_alu instid0(VALU_DEP_4) | instskip(NEXT) | instid1(VALU_DEP_4)
	v_add_co_u32 v18, vcc_lo, v4, s4
	v_add_co_ci_u32_e32 v19, vcc_lo, s5, v5, vcc_lo
	s_delay_alu instid0(VALU_DEP_3) | instskip(NEXT) | instid1(VALU_DEP_3)
	v_fmac_f32_e32 v14, v12, v50
	v_add_co_u32 v12, vcc_lo, v18, s2
	v_fma_f32 v15, v13, v50, -v15
	s_delay_alu instid0(VALU_DEP_4)
	v_add_co_ci_u32_e32 v13, vcc_lo, s3, v19, vcc_lo
	ds_store_b64 v64, v[32:33] offset:17496
	s_clause 0x1
	scratch_store_b64 off, v[50:51], off offset:184
	scratch_store_b64 off, v[40:41], off offset:200
	ds_store_b64 v64, v[6:7] offset:34992
	s_waitcnt vmcnt(12)
	scratch_store_b64 off, v[46:47], off offset:152 ; 8-byte Folded Spill
	ds_store_2addr_b64 v64, v[0:1], v[2:3] offset1:243
	s_waitcnt vmcnt(11)
	v_mul_f32_e32 v7, v20, v47
	s_clause 0x1
	global_load_b64 v[36:37], v[30:31], off offset:696
	global_load_b64 v[40:41], v[22:23], off offset:3960
	global_load_b64 v[0:1], v[12:13], off
	v_mul_f32_e32 v6, v21, v47
	s_waitcnt vmcnt(13)
	scratch_store_b64 off, v[55:56], off offset:192 ; 8-byte Folded Spill
	s_waitcnt vmcnt(11)
	scratch_store_b64 off, v[44:45], off offset:136 ; 8-byte Folded Spill
	v_fma_f32 v7, v21, v46, -v7
	global_load_b64 v[32:33], v[34:35], off offset:1808
	v_fmac_f32_e32 v6, v20, v46
	v_add_co_u32 v20, vcc_lo, 0x2000, v88
	v_add_co_ci_u32_e32 v21, vcc_lo, 0, v76, vcc_lo
	ds_store_2addr_b64 v236, v[14:15], v[6:7] offset0:6 offset1:249
	v_add_co_u32 v6, vcc_lo, v12, s2
	v_add_co_ci_u32_e32 v7, vcc_lo, s3, v13, vcc_lo
	global_load_b64 v[38:39], v[26:27], off offset:3680
	global_load_b64 v[4:5], v[4:5], off
	v_add_co_u32 v14, vcc_lo, v6, s4
	v_mul_f32_e32 v2, v17, v56
	v_mul_f32_e32 v3, v16, v56
	s_waitcnt vmcnt(13)
	v_mul_f32_e32 v13, v24, v45
	v_mul_f32_e32 v12, v25, v45
	v_add_co_ci_u32_e32 v15, vcc_lo, s5, v7, vcc_lo
	global_load_b64 v[6:7], v[6:7], off
	v_fma_f32 v3, v17, v55, -v3
	v_fmac_f32_e32 v2, v16, v55
	v_fma_f32 v13, v25, v44, -v13
	s_waitcnt vmcnt(12)
	v_mul_f32_e32 v16, v10, v53
	v_fmac_f32_e32 v12, v24, v44
	s_clause 0x3
	global_load_b64 v[26:27], v[20:21], off offset:1528
	global_load_b64 v[22:23], v[30:31], off offset:2640
	;; [unrolled: 1-line block ×4, first 2 shown]
	ds_store_2addr_b64 v59, v[2:3], v[12:13] offset0:9 offset1:252
	v_fma_f32 v3, v11, v52, -v16
	global_load_b64 v[16:17], v[18:19], off
	v_add_co_u32 v18, vcc_lo, v14, s2
	global_load_b64 v[13:14], v[14:15], off
	v_mul_f32_e32 v2, v11, v53
	s_waitcnt vmcnt(16)
	v_mul_f32_e32 v12, v28, v49
	v_mul_f32_e32 v11, v29, v49
	v_add_co_ci_u32_e32 v19, vcc_lo, s3, v15, vcc_lo
	v_fmac_f32_e32 v2, v10, v52
	s_delay_alu instid0(VALU_DEP_4) | instskip(NEXT) | instid1(VALU_DEP_4)
	v_fma_f32 v12, v29, v48, -v12
	v_fmac_f32_e32 v11, v28, v48
	v_add_nc_u32_e32 v10, 0xf00, v64
	s_clause 0x1
	scratch_store_b64 off, v[52:53], off offset:176
	scratch_store_b64 off, v[48:49], off offset:168
	s_waitcnt vmcnt(14)
	scratch_store_b64 off, v[57:58], off offset:144 ; 8-byte Folded Spill
	v_add_co_u32 v212, null, 0x5b2, v54
	ds_store_2addr_b64 v10, v[2:3], v[11:12] offset0:6 offset1:249
	global_load_b64 v[2:3], v[18:19], off
	v_mov_b32_e32 v160, v10
	s_waitcnt vmcnt(14)
	v_mul_f32_e32 v10, v8, v58
	v_add_co_u32 v213, null, 0x6a5, v54
	v_and_b32_e32 v132, 0xffff, v206
	v_and_b32_e32 v134, 0xffff, v211
	s_delay_alu instid0(VALU_DEP_4)
	v_fma_f32 v10, v9, v57, -v10
	v_mul_f32_e32 v9, v9, v58
	v_mov_b32_e32 v155, v54
	v_and_b32_e32 v89, 0xffff, v136
	v_and_b32_e32 v135, 0xffff, v234
	;; [unrolled: 1-line block ×3, first 2 shown]
	v_fmac_f32_e32 v9, v8, v57
	s_waitcnt vmcnt(13)
	scratch_store_b64 off, v[36:37], off offset:120 ; 8-byte Folded Spill
	s_waitcnt vmcnt(12)
	scratch_store_b64 off, v[40:41], off offset:160 ; 8-byte Folded Spill
	s_waitcnt vmcnt(11)
	v_mul_f32_e32 v8, v0, v37
	v_mul_f32_e32 v11, v1, v37
	s_delay_alu instid0(VALU_DEP_2) | instskip(NEXT) | instid1(VALU_DEP_2)
	v_fma_f32 v12, v1, v36, -v8
	v_fmac_f32_e32 v11, v0, v36
	v_add_nc_u32_e32 v0, 0x5b00, v64
	v_add_nc_u32_e32 v36, 0xa700, v64
	ds_store_2addr_b64 v0, v[9:10], v[11:12] offset0:4 offset1:247
	v_dual_mov_b32 v28, v0 :: v_dual_add_nc_u32 v11, 0x9f40, v64
	s_waitcnt vmcnt(9)
	scratch_store_b64 off, v[38:39], off offset:128 ; 8-byte Folded Spill
	s_waitcnt vmcnt(8)
	v_mul_f32_e32 v1, v4, v41
	v_mul_f32_e32 v0, v5, v41
	v_mov_b32_e32 v106, v36
	s_delay_alu instid0(VALU_DEP_3) | instskip(SKIP_1) | instid1(VALU_DEP_3)
	v_fma_f32 v1, v5, v40, -v1
	s_waitcnt vmcnt(7)
	v_dual_fmac_f32 v0, v4, v40 :: v_dual_mul_f32 v5, v6, v33
	v_mul_f32_e32 v4, v7, v33
	s_delay_alu instid0(VALU_DEP_2) | instskip(NEXT) | instid1(VALU_DEP_2)
	v_fma_f32 v5, v7, v32, -v5
	v_fmac_f32_e32 v4, v6, v32
	v_add_co_u32 v6, vcc_lo, v18, s2
	v_add_co_ci_u32_e32 v7, vcc_lo, s3, v19, vcc_lo
	ds_store_2addr_b64 v11, v[0:1], v[4:5] offset0:7 offset1:250
	s_waitcnt vmcnt(2)
	v_mul_f32_e32 v9, v16, v39
	v_mul_f32_e32 v8, v17, v39
	v_add_co_u32 v4, vcc_lo, v6, s4
	s_waitcnt vmcnt(1)
	v_mul_f32_e32 v10, v13, v27
	v_mul_f32_e32 v0, v14, v27
	v_add_co_ci_u32_e32 v5, vcc_lo, s5, v7, vcc_lo
	v_fma_f32 v9, v17, v38, -v9
	v_fmac_f32_e32 v8, v16, v38
	v_fma_f32 v1, v14, v26, -v10
	v_fmac_f32_e32 v0, v13, v26
	v_add_co_u32 v10, vcc_lo, v4, s2
	v_add_co_ci_u32_e32 v11, vcc_lo, s3, v5, vcc_lo
	ds_store_2addr_b64 v218, v[8:9], v[0:1] offset0:12 offset1:255
	v_add_co_u32 v0, vcc_lo, 0x7000, v88
	s_waitcnt vmcnt(0)
	v_mul_f32_e32 v13, v2, v23
	v_mul_f32_e32 v12, v3, v23
	v_add_co_ci_u32_e32 v1, vcc_lo, 0, v76, vcc_lo
	global_load_b64 v[8:9], v[10:11], off
	v_fma_f32 v13, v3, v22, -v13
	v_fmac_f32_e32 v12, v2, v22
	s_clause 0x1
	global_load_b64 v[2:3], v[0:1], off offset:488
	global_load_b64 v[14:15], v[0:1], off offset:2432
	scratch_store_b64 off, v[26:27], off offset:112 ; 8-byte Folded Spill
	s_waitcnt vmcnt(1)
	v_mul_f32_e32 v0, v8, v3
	s_clause 0x2
	scratch_store_b64 off, v[2:3], off offset:80
	scratch_store_b64 off, v[32:33], off offset:104
	;; [unrolled: 1-line block ×3, first 2 shown]
	v_fma_f32 v1, v9, v2, -v0
	v_mul_f32_e32 v0, v9, v3
	s_delay_alu instid0(VALU_DEP_1)
	v_fmac_f32_e32 v0, v8, v2
	global_load_b64 v[2:3], v[6:7], off
	v_add_nc_u32_e32 v6, 0x6a00, v64
	ds_store_2addr_b64 v6, v[12:13], v[0:1] offset0:10 offset1:253
	v_add_co_u32 v0, vcc_lo, v10, s2
	v_add_co_ci_u32_e32 v1, vcc_lo, s3, v11, vcc_lo
	v_add_co_u32 v8, vcc_lo, 0xb000, v88
	v_add_co_ci_u32_e32 v9, vcc_lo, 0, v76, vcc_lo
	v_mov_b32_e32 v220, v6
	global_load_b64 v[10:11], v[8:9], off offset:1600
	scratch_store_b64 off, v[22:23], off offset:72 ; 8-byte Folded Spill
	s_waitcnt vmcnt(1)
	v_mul_f32_e32 v7, v2, v25
	v_mul_f32_e32 v6, v3, v25
	s_delay_alu instid0(VALU_DEP_2) | instskip(NEXT) | instid1(VALU_DEP_2)
	v_fma_f32 v7, v3, v24, -v7
	v_fmac_f32_e32 v6, v2, v24
	v_add_nc_u32_e32 v24, 0x9780, v64
	s_delay_alu instid0(VALU_DEP_1)
	v_mov_b32_e32 v161, v24
	s_waitcnt vmcnt(0)
	scratch_store_b64 off, v[10:11], off offset:56 ; 8-byte Folded Spill
	global_load_b64 v[12:13], v[8:9], off offset:3544
	global_load_b64 v[2:3], v[0:1], off
	v_add_co_u32 v0, vcc_lo, v0, s4
	v_add_co_ci_u32_e32 v1, vcc_lo, s5, v1, vcc_lo
	scratch_store_b64 off, v[20:21], off offset:64 ; 8-byte Folded Spill
	s_waitcnt vmcnt(0)
	v_mul_f32_e32 v8, v2, v11
	s_delay_alu instid0(VALU_DEP_1) | instskip(SKIP_1) | instid1(VALU_DEP_1)
	v_fma_f32 v9, v3, v10, -v8
	v_mul_f32_e32 v8, v3, v11
	v_fmac_f32_e32 v8, v2, v10
	v_add_nc_u32_e32 v2, 0xae80, v64
	ds_store_2addr_b64 v2, v[6:7], v[8:9] offset0:5 offset1:248
	global_load_b64 v[2:3], v[4:5], off
	v_add_co_u32 v5, vcc_lo, 0x3000, v88
	v_add_co_ci_u32_e32 v6, vcc_lo, 0, v76, vcc_lo
	global_load_b64 v[8:9], v[5:6], off offset:1320
	s_waitcnt vmcnt(1)
	v_mul_f32_e32 v4, v2, v21
	s_delay_alu instid0(VALU_DEP_1)
	v_fma_f32 v4, v3, v20, -v4
	v_mul_f32_e32 v3, v3, v21
	s_waitcnt vmcnt(0)
	scratch_store_b64 off, v[8:9], off offset:88 ; 8-byte Folded Spill
	global_load_b64 v[16:17], v[5:6], off offset:3264
	global_load_b64 v[5:6], v[0:1], off
	v_add_co_u32 v0, vcc_lo, v0, s2
	v_fmac_f32_e32 v3, v2, v20
	v_add_co_ci_u32_e32 v1, vcc_lo, s3, v1, vcc_lo
	s_clause 0x2
	scratch_store_b64 off, v[14:15], off offset:24
	scratch_store_b64 off, v[42:43], off offset:32
	;; [unrolled: 1-line block ×3, first 2 shown]
	s_waitcnt vmcnt(0)
	v_mul_f32_e32 v2, v5, v9
	s_delay_alu instid0(VALU_DEP_1) | instskip(SKIP_2) | instid1(VALU_DEP_2)
	v_fma_f32 v7, v6, v8, -v2
	v_mul_f32_e32 v6, v6, v9
	v_add_nc_u32_e32 v2, 0x2d80, v64
	v_fmac_f32_e32 v6, v5, v8
	s_delay_alu instid0(VALU_DEP_2)
	v_mov_b32_e32 v44, v2
	ds_store_2addr_b64 v2, v[3:4], v[6:7] offset0:2 offset1:245
	v_add_co_u32 v2, vcc_lo, v0, s2
	v_add_co_ci_u32_e32 v3, vcc_lo, s3, v1, vcc_lo
	global_load_b64 v[0:1], v[0:1], off
	v_mov_b32_e32 v170, v44
	s_waitcnt vmcnt(0)
	v_mul_f32_e32 v4, v0, v15
	s_delay_alu instid0(VALU_DEP_1) | instskip(SKIP_1) | instid1(VALU_DEP_1)
	v_fma_f32 v5, v1, v14, -v4
	v_mul_f32_e32 v4, v1, v15
	v_fmac_f32_e32 v4, v0, v14
	v_add_co_u32 v0, vcc_lo, v2, s4
	v_add_co_ci_u32_e32 v1, vcc_lo, s5, v3, vcc_lo
	global_load_b64 v[2:3], v[2:3], off
	v_add_co_u32 v6, vcc_lo, v0, s2
	v_add_co_ci_u32_e32 v7, vcc_lo, s3, v1, vcc_lo
	v_add_nc_u32_e32 v14, 0x8880, v64
	global_load_b64 v[8:9], v[6:7], off
	v_mov_b32_e32 v174, v14
	s_waitcnt vmcnt(0)
	v_mul_f32_e32 v10, v8, v43
	s_delay_alu instid0(VALU_DEP_1) | instskip(SKIP_1) | instid1(VALU_DEP_1)
	v_fma_f32 v10, v9, v42, -v10
	v_mul_f32_e32 v9, v9, v43
	v_dual_fmac_f32 v9, v8, v42 :: v_dual_add_nc_u32 v8, 0x7980, v64
	ds_store_2addr_b64 v8, v[4:5], v[9:10] offset1:243
	v_add_co_u32 v4, vcc_lo, v6, s2
	v_mul_f32_e32 v6, v2, v13
	v_add_co_ci_u32_e32 v5, vcc_lo, s3, v7, vcc_lo
	v_mov_b32_e32 v56, v8
	v_add_co_u32 v8, vcc_lo, 0xc000, v88
	v_add_co_ci_u32_e32 v9, vcc_lo, 0, v76, vcc_lo
	v_fma_f32 v7, v3, v12, -v6
	v_mul_f32_e32 v6, v3, v13
	scratch_store_b64 off, v[8:9], off offset:428 ; 8-byte Folded Spill
	v_fmac_f32_e32 v6, v2, v12
	global_load_b64 v[2:3], v[4:5], off
	global_load_b64 v[8:9], v[8:9], off offset:1392
	global_load_b64 v[0:1], v[0:1], off
	scratch_store_b64 off, v[16:17], off offset:40 ; 8-byte Folded Spill
	s_load_b128 s[4:7], s[6:7], 0x0
	s_waitcnt vmcnt(1)
	v_mul_f32_e32 v4, v2, v9
	scratch_store_b64 off, v[8:9], off offset:8 ; 8-byte Folded Spill
	v_fma_f32 v4, v3, v8, -v4
	v_mul_f32_e32 v3, v3, v9
	s_delay_alu instid0(VALU_DEP_1)
	v_fmac_f32_e32 v3, v2, v8
	v_add_nc_u32_e32 v2, 0xbd80, v64
	v_dual_mov_b32 v103, v28 :: v_dual_add_nc_u32 v8, 0x3c80, v64
	ds_store_2addr_b64 v2, v[6:7], v[3:4] offset0:11 offset1:254
	s_waitcnt vmcnt(0)
	v_mul_f32_e32 v2, v0, v17
	v_mov_b32_e32 v153, v8
	s_delay_alu instid0(VALU_DEP_2) | instskip(SKIP_1) | instid1(VALU_DEP_1)
	v_fma_f32 v2, v1, v16, -v2
	v_mul_f32_e32 v1, v1, v17
	v_fmac_f32_e32 v1, v0, v16
	ds_store_b64 v64, v[1:2] offset:15552
	s_waitcnt lgkmcnt(0)
	s_waitcnt_vscnt null, 0x0
	s_barrier
	buffer_gl0_inv
	ds_load_2addr_b64 v[4:7], v64 offset1:243
	ds_load_2addr_b64 v[0:3], v8 offset0:8 offset1:251
	ds_load_2addr_b64 v[8:11], v14 offset0:6 offset1:249
	s_waitcnt lgkmcnt(1)
	v_dual_add_f32 v13, v5, v3 :: v_dual_add_f32 v12, v4, v2
	s_waitcnt lgkmcnt(0)
	s_delay_alu instid0(VALU_DEP_1) | instskip(NEXT) | instid1(VALU_DEP_2)
	v_add_f32_e32 v17, v13, v9
	v_dual_add_f32 v13, v3, v9 :: v_dual_add_f32 v16, v12, v8
	v_add_f32_e32 v12, v2, v8
	v_dual_sub_f32 v2, v2, v8 :: v_dual_sub_f32 v3, v3, v9
	s_delay_alu instid0(VALU_DEP_3) | instskip(NEXT) | instid1(VALU_DEP_3)
	v_fma_f32 v19, -0.5, v13, v5
	v_fma_f32 v18, -0.5, v12, v4
	s_delay_alu instid0(VALU_DEP_2) | instskip(SKIP_2) | instid1(VALU_DEP_4)
	v_fmamk_f32 v53, v2, 0xbf5db3d7, v19
	v_fmac_f32_e32 v19, 0x3f5db3d7, v2
	v_mul_lo_u16 v2, v65, 3
	v_fmamk_f32 v52, v3, 0x3f5db3d7, v18
	v_fmac_f32_e32 v18, 0xbf5db3d7, v3
	s_delay_alu instid0(VALU_DEP_3) | instskip(NEXT) | instid1(VALU_DEP_1)
	v_and_b32_e32 v2, 0xffff, v2
	v_lshlrev_b32_e32 v55, 3, v2
	scratch_store_b32 off, v55, off offset:252 ; 4-byte Folded Spill
	ds_load_b64 v[8:9], v64 offset:50544
	ds_load_2addr_b64 v[2:5], v236 offset0:6 offset1:249
	ds_load_2addr_b64 v[12:15], v160 offset0:6 offset1:249
	;; [unrolled: 1-line block ×8, first 2 shown]
	v_add_nc_u32_e32 v48, 0xb600, v64
	ds_load_2addr_b64 v[44:47], v48 offset0:8 offset1:251
	v_mov_b32_e32 v108, v48
	ds_load_2addr_b64 v[48:51], v56 offset1:243
	s_waitcnt lgkmcnt(0)
	s_waitcnt_vscnt null, 0x0
	s_barrier
	buffer_gl0_inv
	ds_store_2addr_b64 v55, v[16:17], v[52:53] offset1:1
	ds_store_b64 v55, v[18:19] offset:16
	v_dual_add_f32 v16, v6, v2 :: v_dual_add_f32 v17, v7, v3
	v_sub_f32_e32 v53, v3, v11
	v_dual_add_f32 v3, v3, v11 :: v_dual_add_f32 v52, v2, v10
	s_delay_alu instid0(VALU_DEP_3) | instskip(NEXT) | instid1(VALU_DEP_4)
	v_add_f32_e32 v16, v16, v10
	v_dual_sub_f32 v10, v2, v10 :: v_dual_add_f32 v17, v17, v11
	s_delay_alu instid0(VALU_DEP_3) | instskip(NEXT) | instid1(VALU_DEP_4)
	v_fmac_f32_e32 v7, -0.5, v3
	v_fma_f32 v6, -0.5, v52, v6
	v_sub_f32_e32 v11, v4, v20
	s_delay_alu instid0(VALU_DEP_3) | instskip(SKIP_4) | instid1(VALU_DEP_3)
	v_fmamk_f32 v3, v10, 0xbf5db3d7, v7
	v_fmac_f32_e32 v7, 0x3f5db3d7, v10
	v_mul_u32_u24_e32 v10, 3, v136
	v_fmamk_f32 v2, v53, 0x3f5db3d7, v6
	v_fmac_f32_e32 v6, 0xbf5db3d7, v53
	v_lshlrev_b32_e32 v10, 3, v10
	scratch_store_b32 off, v10, off offset:236 ; 4-byte Folded Spill
	ds_store_2addr_b64 v10, v[16:17], v[2:3] offset1:1
	ds_store_b64 v10, v[6:7] offset:16
	v_add_f32_e32 v2, v4, v20
	v_dual_add_f32 v6, v12, v4 :: v_dual_add_f32 v3, v5, v21
	v_sub_f32_e32 v10, v5, v21
	v_add_f32_e32 v7, v13, v5
	s_delay_alu instid0(VALU_DEP_4) | instskip(NEXT) | instid1(VALU_DEP_4)
	v_fma_f32 v2, -0.5, v2, v12
	v_add_f32_e32 v4, v6, v20
	v_fma_f32 v3, -0.5, v3, v13
	s_delay_alu instid0(VALU_DEP_3) | instskip(SKIP_2) | instid1(VALU_DEP_4)
	v_dual_add_f32 v5, v7, v21 :: v_dual_fmamk_f32 v6, v10, 0x3f5db3d7, v2
	v_fmac_f32_e32 v2, 0xbf5db3d7, v10
	v_mul_u32_u24_e32 v10, 3, v234
	v_fmamk_f32 v7, v11, 0xbf5db3d7, v3
	v_fmac_f32_e32 v3, 0x3f5db3d7, v11
	v_sub_f32_e32 v11, v24, v22
	s_delay_alu instid0(VALU_DEP_4)
	v_lshlrev_b32_e32 v12, 3, v10
	v_add_f32_e32 v10, v25, v23
	ds_store_2addr_b64 v12, v[4:5], v[6:7] offset1:1
	ds_store_b64 v12, v[2:3] offset:16
	v_add_f32_e32 v6, v24, v22
	v_dual_add_f32 v4, v14, v24 :: v_dual_add_f32 v5, v15, v25
	v_sub_f32_e32 v7, v25, v23
	v_fmac_f32_e32 v15, -0.5, v10
	s_delay_alu instid0(VALU_DEP_4) | instskip(SKIP_2) | instid1(VALU_DEP_4)
	v_fma_f32 v14, -0.5, v6, v14
	v_mul_u32_u24_e32 v6, 3, v206
	v_dual_add_f32 v4, v4, v22 :: v_dual_add_f32 v5, v5, v23
	v_fmamk_f32 v3, v11, 0xbf5db3d7, v15
	s_delay_alu instid0(VALU_DEP_4) | instskip(NEXT) | instid1(VALU_DEP_4)
	v_fmamk_f32 v2, v7, 0x3f5db3d7, v14
	v_lshlrev_b32_e32 v6, 3, v6
	v_fmac_f32_e32 v14, 0xbf5db3d7, v7
	v_fmac_f32_e32 v15, 0x3f5db3d7, v11
	scratch_store_b32 off, v12, off offset:248 ; 4-byte Folded Spill
	v_sub_f32_e32 v7, v27, v33
	scratch_store_b32 off, v6, off offset:232 ; 4-byte Folded Spill
	ds_store_2addr_b64 v6, v[4:5], v[2:3] offset1:1
	ds_store_b64 v6, v[14:15] offset:16
	v_dual_add_f32 v2, v26, v32 :: v_dual_add_f32 v3, v27, v33
	v_sub_f32_e32 v10, v26, v32
	v_add_co_u32 v11, null, 0x3cc, v54
	s_delay_alu instid0(VALU_DEP_3) | instskip(NEXT) | instid1(VALU_DEP_4)
	v_fma_f32 v2, -0.5, v2, v28
	v_fma_f32 v3, -0.5, v3, v29
	v_dual_add_f32 v4, v28, v26 :: v_dual_add_f32 v5, v29, v27
	s_delay_alu instid0(VALU_DEP_4) | instskip(NEXT) | instid1(VALU_DEP_4)
	v_mov_b32_e32 v29, v11
	v_fmamk_f32 v6, v7, 0x3f5db3d7, v2
	s_delay_alu instid0(VALU_DEP_4) | instskip(SKIP_4) | instid1(VALU_DEP_3)
	v_dual_fmac_f32 v2, 0xbf5db3d7, v7 :: v_dual_fmamk_f32 v7, v10, 0xbf5db3d7, v3
	v_fmac_f32_e32 v3, 0x3f5db3d7, v10
	v_mul_u32_u24_e32 v10, 3, v11
	v_dual_add_f32 v4, v4, v32 :: v_dual_add_f32 v5, v5, v33
	v_sub_f32_e32 v11, v36, v34
	v_dual_mov_b32 v109, v56 :: v_dual_lshlrev_b32 v12, 3, v10
	v_add_f32_e32 v10, v37, v35
	ds_store_2addr_b64 v12, v[4:5], v[6:7] offset1:1
	ds_store_b64 v12, v[2:3] offset:16
	v_add_f32_e32 v6, v36, v34
	v_dual_add_f32 v4, v30, v36 :: v_dual_add_f32 v5, v31, v37
	v_sub_f32_e32 v7, v37, v35
	v_fmac_f32_e32 v31, -0.5, v10
	s_delay_alu instid0(VALU_DEP_4) | instskip(SKIP_2) | instid1(VALU_DEP_4)
	v_fma_f32 v30, -0.5, v6, v30
	v_mul_u32_u24_e32 v6, 3, v211
	v_dual_add_f32 v4, v4, v34 :: v_dual_add_f32 v5, v5, v35
	v_fmamk_f32 v3, v11, 0xbf5db3d7, v31
	s_delay_alu instid0(VALU_DEP_4) | instskip(NEXT) | instid1(VALU_DEP_4)
	v_fmamk_f32 v2, v7, 0x3f5db3d7, v30
	v_lshlrev_b32_e32 v6, 3, v6
	v_fmac_f32_e32 v30, 0xbf5db3d7, v7
	v_fmac_f32_e32 v31, 0x3f5db3d7, v11
	scratch_store_b32 off, v12, off offset:244 ; 4-byte Folded Spill
	v_sub_f32_e32 v7, v39, v45
	scratch_store_b32 off, v6, off offset:228 ; 4-byte Folded Spill
	ds_store_2addr_b64 v6, v[4:5], v[2:3] offset1:1
	ds_store_b64 v6, v[30:31] offset:16
	v_dual_add_f32 v2, v38, v44 :: v_dual_add_f32 v3, v39, v45
	v_sub_f32_e32 v10, v38, v44
	v_dual_add_f32 v4, v40, v38 :: v_dual_add_f32 v5, v41, v39
	s_delay_alu instid0(VALU_DEP_3) | instskip(NEXT) | instid1(VALU_DEP_4)
	v_fma_f32 v2, -0.5, v2, v40
	v_fma_f32 v3, -0.5, v3, v41
	v_sub_f32_e32 v11, v48, v46
	s_delay_alu instid0(VALU_DEP_4) | instskip(NEXT) | instid1(VALU_DEP_4)
	v_dual_add_f32 v4, v4, v44 :: v_dual_add_f32 v5, v5, v45
	v_fmamk_f32 v6, v7, 0x3f5db3d7, v2
	s_delay_alu instid0(VALU_DEP_4) | instskip(SKIP_2) | instid1(VALU_DEP_1)
	v_dual_fmac_f32 v2, 0xbf5db3d7, v7 :: v_dual_fmamk_f32 v7, v10, 0xbf5db3d7, v3
	v_fmac_f32_e32 v3, 0x3f5db3d7, v10
	v_mul_u32_u24_e32 v10, 3, v212
	v_lshlrev_b32_e32 v12, 3, v10
	v_add_f32_e32 v10, v49, v47
	ds_store_2addr_b64 v12, v[4:5], v[6:7] offset1:1
	ds_store_b64 v12, v[2:3] offset:16
	v_add_f32_e32 v6, v48, v46
	v_dual_add_f32 v4, v42, v48 :: v_dual_add_f32 v5, v43, v49
	v_sub_f32_e32 v7, v49, v47
	v_fmac_f32_e32 v43, -0.5, v10
	s_delay_alu instid0(VALU_DEP_4) | instskip(SKIP_2) | instid1(VALU_DEP_4)
	v_fma_f32 v42, -0.5, v6, v42
	v_mul_u32_u24_e32 v6, 3, v213
	v_dual_add_f32 v4, v4, v46 :: v_dual_add_f32 v5, v5, v47
	v_fmamk_f32 v3, v11, 0xbf5db3d7, v43
	s_delay_alu instid0(VALU_DEP_4) | instskip(NEXT) | instid1(VALU_DEP_4)
	v_fmamk_f32 v2, v7, 0x3f5db3d7, v42
	v_lshlrev_b32_e32 v6, 3, v6
	v_fmac_f32_e32 v42, 0xbf5db3d7, v7
	v_fmac_f32_e32 v43, 0x3f5db3d7, v11
	scratch_store_b32 off, v12, off offset:240 ; 4-byte Folded Spill
	v_add_co_u32 v48, null, 0x798, v54
	scratch_store_b32 off, v6, off offset:256 ; 4-byte Folded Spill
	ds_store_2addr_b64 v6, v[4:5], v[2:3] offset1:1
	ds_store_b64 v6, v[42:43] offset:16
	v_add_f32_e32 v4, v50, v8
	v_add_f32_e32 v6, v51, v9
	v_dual_add_f32 v2, v0, v50 :: v_dual_add_f32 v3, v1, v51
	v_sub_f32_e32 v5, v51, v9
	v_sub_f32_e32 v7, v50, v8
	v_fma_f32 v0, -0.5, v4, v0
	v_fmac_f32_e32 v1, -0.5, v6
	v_mul_u32_u24_e32 v6, 3, v48
	v_dual_add_f32 v2, v2, v8 :: v_dual_add_f32 v3, v3, v9
	s_delay_alu instid0(VALU_DEP_4) | instskip(NEXT) | instid1(VALU_DEP_4)
	v_fmamk_f32 v4, v5, 0x3f5db3d7, v0
	v_dual_fmac_f32 v0, 0xbf5db3d7, v5 :: v_dual_fmamk_f32 v5, v7, 0xbf5db3d7, v1
	s_delay_alu instid0(VALU_DEP_4)
	v_dual_fmac_f32 v1, 0x3f5db3d7, v7 :: v_dual_lshlrev_b32 v6, 3, v6
	scratch_store_b32 off, v155, off offset:224 ; 4-byte Folded Spill
	v_dual_mov_b32 v110, v48 :: v_dual_and_b32 v233, 0xffff, v48
	scratch_store_b32 off, v6, off offset:260 ; 4-byte Folded Spill
	ds_store_2addr_b64 v6, v[2:3], v[4:5] offset1:1
	ds_store_b64 v6, v[0:1] offset:16
	v_mul_u32_u24_e32 v0, 0xaaab, v89
	s_waitcnt lgkmcnt(0)
	s_waitcnt_vscnt null, 0x0
	s_barrier
	buffer_gl0_inv
	v_lshrrev_b32_e32 v36, 17, v0
	v_mul_lo_u16 v0, 0xab, v90
	s_delay_alu instid0(VALU_DEP_1) | instskip(NEXT) | instid1(VALU_DEP_3)
	v_lshrrev_b16 v38, 9, v0
	v_mul_lo_u16 v0, v36, 3
	s_delay_alu instid0(VALU_DEP_1) | instskip(NEXT) | instid1(VALU_DEP_3)
	v_sub_nc_u16 v37, v136, v0
	v_mul_lo_u16 v0, v38, 3
	s_delay_alu instid0(VALU_DEP_2) | instskip(NEXT) | instid1(VALU_DEP_2)
	v_lshlrev_b16 v1, 1, v37
	v_sub_nc_u16 v0, v65, v0
	s_delay_alu instid0(VALU_DEP_2) | instskip(NEXT) | instid1(VALU_DEP_2)
	v_and_b32_e32 v1, 0xffff, v1
	v_and_b32_e32 v39, 0xff, v0
	s_delay_alu instid0(VALU_DEP_2) | instskip(NEXT) | instid1(VALU_DEP_2)
	v_lshlrev_b32_e32 v0, 3, v1
	v_lshlrev_b32_e32 v1, 4, v39
	s_clause 0x1
	global_load_b128 v[44:47], v1, s[10:11]
	global_load_b128 v[4:7], v0, s[10:11]
	ds_load_2addr_b64 v[8:11], v174 offset0:6 offset1:249
	ds_load_2addr_b64 v[20:23], v236 offset0:6 offset1:249
	s_waitcnt vmcnt(1) lgkmcnt(1)
	v_mul_f32_e32 v0, v9, v47
	v_mul_f32_e32 v1, v8, v47
	scratch_store_b128 off, v[44:47], off offset:352 ; 16-byte Folded Spill
	v_fma_f32 v3, v8, v46, -v0
	s_waitcnt vmcnt(0)
	v_dual_mul_f32 v0, v11, v7 :: v_dual_fmac_f32 v1, v9, v46
	s_delay_alu instid0(VALU_DEP_1) | instskip(SKIP_2) | instid1(VALU_DEP_2)
	v_fma_f32 v9, v10, v6, -v0
	v_mul_f32_e32 v10, v10, v7
	v_mul_u32_u24_e32 v0, 0xaaab, v135
	v_fmac_f32_e32 v10, v11, v6
	s_delay_alu instid0(VALU_DEP_2)
	v_lshrrev_b32_e32 v11, 17, v0
	v_mul_u32_u24_e32 v0, 0xaaab, v132
	v_mov_b32_e32 v8, v7
	v_mov_b32_e32 v7, v6
	;; [unrolled: 1-line block ×4, first 2 shown]
	v_lshrrev_b32_e32 v12, 17, v0
	v_mul_lo_u16 v0, v11, 3
	s_waitcnt lgkmcnt(0)
	v_mul_f32_e32 v4, v21, v6
	v_mul_f32_e32 v16, v20, v6
	scratch_store_b128 off, v[5:8], off offset:264 ; 16-byte Folded Spill
	v_sub_nc_u16 v13, v234, v0
	v_mul_lo_u16 v0, v12, 3
	v_fma_f32 v15, v20, v5, -v4
	v_fmac_f32_e32 v16, v21, v5
	s_delay_alu instid0(VALU_DEP_3) | instskip(SKIP_1) | instid1(VALU_DEP_2)
	v_sub_nc_u16 v14, v206, v0
	v_lshlrev_b16 v0, 1, v13
	v_lshlrev_b16 v2, 1, v14
	s_delay_alu instid0(VALU_DEP_2) | instskip(NEXT) | instid1(VALU_DEP_2)
	v_and_b32_e32 v0, 0xffff, v0
	v_and_b32_e32 v2, 0xffff, v2
	s_delay_alu instid0(VALU_DEP_2) | instskip(NEXT) | instid1(VALU_DEP_2)
	v_lshlrev_b32_e32 v0, 3, v0
	v_lshlrev_b32_e32 v2, 3, v2
	s_clause 0x1
	global_load_b128 v[4:7], v0, s[10:11]
	global_load_b128 v[24:27], v2, s[10:11]
	v_mov_b32_e32 v2, v29
	s_delay_alu instid0(VALU_DEP_1)
	v_dual_mov_b32 v104, v2 :: v_dual_and_b32 v133, 0xffff, v2
	s_waitcnt vmcnt(1)
	v_mul_f32_e32 v0, v23, v5
	v_mul_f32_e32 v18, v22, v5
	scratch_store_b128 off, v[4:7], off offset:280 ; 16-byte Folded Spill
	v_fma_f32 v17, v22, v4, -v0
	v_fmac_f32_e32 v18, v23, v4
	ds_load_2addr_b64 v[20:23], v161 offset0:12 offset1:255
	s_waitcnt lgkmcnt(0)
	v_mul_f32_e32 v0, v21, v7
	s_waitcnt vmcnt(0)
	v_mul_f32_e32 v28, v22, v27
	s_delay_alu instid0(VALU_DEP_2) | instskip(SKIP_2) | instid1(VALU_DEP_4)
	v_fma_f32 v19, v20, v6, -v0
	v_mul_f32_e32 v20, v20, v7
	v_mul_f32_e32 v0, v23, v27
	v_fmac_f32_e32 v28, v23, v26
	s_delay_alu instid0(VALU_DEP_3) | instskip(NEXT) | instid1(VALU_DEP_3)
	v_fmac_f32_e32 v20, v21, v6
	v_fma_f32 v21, v22, v26, -v0
	v_mul_u32_u24_e32 v0, 0xaaab, v133
	v_dual_mov_b32 v4, v24 :: v_dual_mov_b32 v5, v25
	v_dual_mov_b32 v6, v26 :: v_dual_mov_b32 v7, v27
	s_delay_alu instid0(VALU_DEP_3)
	v_lshrrev_b32_e32 v29, 17, v0
	v_mul_u32_u24_e32 v0, 0xaaab, v134
	ds_load_2addr_b64 v[22:25], v103 offset0:4 offset1:247
	v_mov_b32_e32 v8, v7
	v_mov_b32_e32 v7, v6
	v_lshrrev_b32_e32 v58, 17, v0
	v_mul_lo_u16 v0, v29, 3
	v_mov_b32_e32 v6, v5
	v_mov_b32_e32 v5, v4
	s_delay_alu instid0(VALU_DEP_3)
	v_sub_nc_u16 v59, v2, v0
	v_mul_lo_u16 v0, v58, 3
	scratch_store_b128 off, v[5:8], off offset:296 ; 16-byte Folded Spill
	v_sub_nc_u16 v60, v211, v0
	v_lshlrev_b16 v0, 1, v59
	s_waitcnt lgkmcnt(0)
	v_mul_f32_e32 v4, v23, v6
	s_delay_alu instid0(VALU_DEP_3) | instskip(NEXT) | instid1(VALU_DEP_3)
	v_lshlrev_b16 v2, 1, v60
	v_and_b32_e32 v0, 0xffff, v0
	s_delay_alu instid0(VALU_DEP_3) | instskip(SKIP_1) | instid1(VALU_DEP_3)
	v_fma_f32 v61, v22, v5, -v4
	v_mul_f32_e32 v22, v22, v6
	v_lshlrev_b32_e32 v0, 3, v0
	v_and_b32_e32 v2, 0xffff, v2
	s_delay_alu instid0(VALU_DEP_3)
	v_fmac_f32_e32 v22, v23, v5
	global_load_b128 v[4:7], v0, s[10:11]
	v_lshlrev_b32_e32 v2, 3, v2
	global_load_b128 v[30:33], v2, s[10:11]
	s_waitcnt vmcnt(1)
	v_mul_f32_e32 v0, v25, v5
	v_mul_f32_e32 v62, v24, v5
	scratch_store_b128 off, v[4:7], off offset:312 ; 16-byte Folded Spill
	v_fma_f32 v23, v24, v4, -v0
	v_fmac_f32_e32 v62, v25, v4
	ds_load_2addr_b64 v[24:27], v106 offset0:2 offset1:245
	s_waitcnt lgkmcnt(0)
	v_mul_f32_e32 v0, v25, v7
	s_delay_alu instid0(VALU_DEP_1) | instskip(SKIP_3) | instid1(VALU_DEP_2)
	v_fma_f32 v63, v24, v6, -v0
	v_mul_f32_e32 v24, v24, v7
	s_waitcnt vmcnt(0)
	v_mul_f32_e32 v0, v27, v33
	v_fmac_f32_e32 v24, v25, v6
	s_delay_alu instid0(VALU_DEP_2) | instskip(SKIP_3) | instid1(VALU_DEP_3)
	v_fma_f32 v25, v26, v32, -v0
	v_mul_f32_e32 v26, v26, v33
	v_mul_u32_u24_e32 v0, 0xaaab, v235
	v_dual_mov_b32 v5, v30 :: v_dual_mov_b32 v6, v31
	v_dual_mov_b32 v7, v32 :: v_dual_fmac_f32 v26, v27, v32
	s_delay_alu instid0(VALU_DEP_3)
	v_lshrrev_b32_e32 v27, 17, v0
	v_and_b32_e32 v0, 0xffff, v213
	v_mov_b32_e32 v8, v33
	ds_load_2addr_b64 v[30:33], v220 offset0:10 offset1:253
	v_mul_u32_u24_e32 v2, 0xaaab, v0
	v_mov_b32_e32 v43, v8
	v_dual_mov_b32 v41, v6 :: v_dual_mov_b32 v42, v7
	v_mov_b32_e32 v40, v5
	s_delay_alu instid0(VALU_DEP_4) | instskip(SKIP_4) | instid1(VALU_DEP_1)
	v_lshrrev_b32_e32 v66, 17, v2
	v_mul_lo_u16 v2, v27, 3
	scratch_store_b128 off, v[40:43], off offset:368 ; 16-byte Folded Spill
	v_sub_nc_u16 v67, v212, v2
	v_mul_lo_u16 v2, v66, 3
	v_sub_nc_u16 v68, v213, v2
	s_delay_alu instid0(VALU_DEP_3) | instskip(SKIP_2) | instid1(VALU_DEP_3)
	v_lshlrev_b16 v2, 1, v67
	s_waitcnt lgkmcnt(0)
	v_mul_f32_e32 v5, v31, v41
	v_lshlrev_b16 v4, 1, v68
	s_delay_alu instid0(VALU_DEP_3) | instskip(NEXT) | instid1(VALU_DEP_3)
	v_and_b32_e32 v2, 0xffff, v2
	v_fma_f32 v69, v30, v40, -v5
	v_mul_f32_e32 v30, v30, v41
	s_delay_alu instid0(VALU_DEP_4) | instskip(NEXT) | instid1(VALU_DEP_4)
	v_and_b32_e32 v4, 0xffff, v4
	v_lshlrev_b32_e32 v2, 3, v2
	s_delay_alu instid0(VALU_DEP_3) | instskip(NEXT) | instid1(VALU_DEP_3)
	v_fmac_f32_e32 v30, v31, v40
	v_lshlrev_b32_e32 v4, 3, v4
	s_clause 0x1
	global_load_b128 v[5:8], v2, s[10:11]
	global_load_b128 v[40:43], v4, s[10:11]
	s_waitcnt vmcnt(1)
	v_mul_f32_e32 v2, v33, v6
	v_mul_f32_e32 v70, v32, v6
	scratch_store_b128 off, v[5:8], off offset:384 ; 16-byte Folded Spill
	v_fma_f32 v31, v32, v5, -v2
	v_fmac_f32_e32 v70, v33, v5
	ds_load_2addr_b64 v[32:35], v108 offset0:8 offset1:251
	s_waitcnt lgkmcnt(0)
	v_mul_f32_e32 v2, v33, v8
	s_delay_alu instid0(VALU_DEP_1) | instskip(SKIP_2) | instid1(VALU_DEP_1)
	v_fma_f32 v71, v32, v7, -v2
	v_mul_f32_e32 v32, v32, v8
	s_waitcnt vmcnt(0)
	v_dual_fmac_f32 v32, v33, v7 :: v_dual_mov_b32 v5, v40
	v_dual_mov_b32 v8, v43 :: v_dual_mov_b32 v7, v42
	v_mov_b32_e32 v6, v41
	ds_load_2addr_b64 v[40:43], v56 offset1:243
	v_mul_f32_e32 v2, v35, v8
	scratch_store_b128 off, v[5:8], off offset:412 ; 16-byte Folded Spill
	v_fma_f32 v33, v34, v7, -v2
	v_mul_f32_e32 v34, v34, v8
	v_mul_u32_u24_e32 v2, 0xaaab, v233
	s_delay_alu instid0(VALU_DEP_2) | instskip(NEXT) | instid1(VALU_DEP_2)
	v_fmac_f32_e32 v34, v35, v7
	v_lshrrev_b32_e32 v35, 17, v2
	s_delay_alu instid0(VALU_DEP_1) | instskip(SKIP_3) | instid1(VALU_DEP_3)
	v_mul_lo_u16 v2, v35, 3
	s_waitcnt lgkmcnt(0)
	v_mul_f32_e32 v4, v41, v6
	v_mul_f32_e32 v74, v40, v6
	v_sub_nc_u16 v72, v48, v2
	s_delay_alu instid0(VALU_DEP_3) | instskip(NEXT) | instid1(VALU_DEP_3)
	v_fma_f32 v73, v40, v5, -v4
	v_fmac_f32_e32 v74, v41, v5
	s_delay_alu instid0(VALU_DEP_3) | instskip(NEXT) | instid1(VALU_DEP_1)
	v_lshlrev_b16 v2, 1, v72
	v_and_b32_e32 v2, 0xffff, v2
	s_delay_alu instid0(VALU_DEP_1)
	v_lshlrev_b32_e32 v2, 3, v2
	global_load_b128 v[4:7], v2, s[10:11]
	s_waitcnt vmcnt(0)
	v_mul_f32_e32 v2, v43, v5
	v_mul_f32_e32 v77, v42, v5
	v_dual_mov_b32 v83, v7 :: v_dual_mov_b32 v82, v6
	v_mov_b32_e32 v81, v5
	s_delay_alu instid0(VALU_DEP_4) | instskip(NEXT) | instid1(VALU_DEP_4)
	v_fma_f32 v75, v42, v4, -v2
	v_fmac_f32_e32 v77, v43, v4
	ds_load_2addr_b64 v[40:43], v153 offset0:8 offset1:251
	v_mov_b32_e32 v80, v4
	s_waitcnt lgkmcnt(0)
	v_mul_f32_e32 v2, v43, v45
	s_delay_alu instid0(VALU_DEP_1) | instskip(NEXT) | instid1(VALU_DEP_1)
	v_fma_f32 v4, v42, v44, -v2
	v_dual_mul_f32 v2, v42, v45 :: v_dual_sub_f32 v79, v4, v3
	s_delay_alu instid0(VALU_DEP_1)
	v_fmac_f32_e32 v2, v43, v44
	ds_load_2addr_b64 v[42:45], v64 offset1:243
	ds_load_b64 v[7:8], v64 offset:50544
	ds_load_2addr_b64 v[46:49], v160 offset0:6 offset1:249
	ds_load_2addr_b64 v[50:53], v218 offset0:12 offset1:255
	;; [unrolled: 1-line block ×3, first 2 shown]
	s_waitcnt lgkmcnt(0)
	s_waitcnt_vscnt null, 0x0
	s_barrier
	v_sub_f32_e32 v78, v2, v1
	v_add_f32_e32 v6, v2, v1
	buffer_gl0_inv
	scratch_store_b128 off, v[80:83], off offset:472 ; 16-byte Folded Spill
	v_add_f32_e32 v5, v43, v2
	s_delay_alu instid0(VALU_DEP_1) | instskip(SKIP_2) | instid1(VALU_DEP_3)
	v_dual_add_f32 v2, v5, v1 :: v_dual_add_f32 v1, v42, v4
	v_add_f32_e32 v5, v4, v3
	v_fma_f32 v4, -0.5, v6, v43
	v_add_f32_e32 v1, v1, v3
	s_delay_alu instid0(VALU_DEP_3) | instskip(SKIP_1) | instid1(VALU_DEP_4)
	v_fma_f32 v3, -0.5, v5, v42
	v_and_b32_e32 v5, 0xffff, v38
	v_fmamk_f32 v6, v79, 0xbf5db3d7, v4
	v_fmac_f32_e32 v4, 0x3f5db3d7, v79
	s_delay_alu instid0(VALU_DEP_3) | instskip(NEXT) | instid1(VALU_DEP_1)
	v_mul_u32_u24_e32 v5, 9, v5
	v_add_lshl_u32 v38, v5, v39, 3
	v_fmamk_f32 v5, v78, 0x3f5db3d7, v3
	v_fmac_f32_e32 v3, 0xbf5db3d7, v78
	ds_store_2addr_b64 v38, v[1:2], v[5:6] offset1:3
	v_add_f32_e32 v1, v45, v16
	ds_store_b64 v38, v[3:4] offset:48
	v_mad_u16 v3, v36, 9, v37
	v_add_f32_e32 v4, v16, v10
	v_add_f32_e32 v6, v15, v9
	v_dual_add_f32 v2, v1, v10 :: v_dual_add_f32 v1, v44, v15
	v_sub_f32_e32 v5, v16, v10
	s_delay_alu instid0(VALU_DEP_4) | instskip(NEXT) | instid1(VALU_DEP_4)
	v_fmac_f32_e32 v45, -0.5, v4
	v_fma_f32 v44, -0.5, v6, v44
	v_and_b32_e32 v3, 0xffff, v3
	v_add_f32_e32 v1, v1, v9
	v_dual_sub_f32 v9, v15, v9 :: v_dual_sub_f32 v10, v17, v19
	s_delay_alu instid0(VALU_DEP_3) | instskip(NEXT) | instid1(VALU_DEP_2)
	v_dual_fmamk_f32 v3, v5, 0x3f5db3d7, v44 :: v_dual_lshlrev_b32 v6, 3, v3
	v_fmamk_f32 v4, v9, 0xbf5db3d7, v45
	v_fmac_f32_e32 v44, 0xbf5db3d7, v5
	v_mad_u16 v5, v11, 9, v13
	v_fmac_f32_e32 v45, 0x3f5db3d7, v9
	v_sub_f32_e32 v9, v18, v20
	ds_store_2addr_b64 v6, v[1:2], v[3:4] offset1:3
	v_dual_add_f32 v1, v47, v18 :: v_dual_add_f32 v4, v18, v20
	v_add_f32_e32 v3, v17, v19
	v_and_b32_e32 v5, 0xffff, v5
	ds_store_b64 v6, v[44:45] offset:48
	v_dual_add_f32 v2, v1, v20 :: v_dual_add_f32 v1, v46, v17
	v_fma_f32 v3, -0.5, v3, v46
	v_fma_f32 v4, -0.5, v4, v47
	v_lshlrev_b32_e32 v11, 3, v5
	s_clause 0x1
	scratch_store_b32 off, v38, off offset:348
	scratch_store_b32 off, v6, off offset:344
	v_add_f32_e32 v1, v1, v19
	v_fmamk_f32 v5, v9, 0x3f5db3d7, v3
	v_dual_fmamk_f32 v6, v10, 0xbf5db3d7, v4 :: v_dual_fmac_f32 v3, 0xbf5db3d7, v9
	v_dual_fmac_f32 v4, 0x3f5db3d7, v10 :: v_dual_sub_f32 v9, v61, v21
	v_sub_f32_e32 v10, v23, v63
	ds_store_2addr_b64 v11, v[1:2], v[5:6] offset1:3
	v_add_f32_e32 v1, v49, v22
	ds_store_b64 v11, v[3:4] offset:48
	v_mad_u16 v3, v12, 9, v14
	v_add_f32_e32 v4, v22, v28
	v_dual_add_f32 v6, v61, v21 :: v_dual_sub_f32 v5, v22, v28
	v_dual_add_f32 v2, v1, v28 :: v_dual_add_f32 v1, v48, v61
	s_delay_alu instid0(VALU_DEP_3) | instskip(NEXT) | instid1(VALU_DEP_3)
	v_fmac_f32_e32 v49, -0.5, v4
	v_fma_f32 v48, -0.5, v6, v48
	v_and_b32_e32 v3, 0xffff, v3
	s_delay_alu instid0(VALU_DEP_4) | instskip(NEXT) | instid1(VALU_DEP_4)
	v_add_f32_e32 v1, v1, v21
	v_fmamk_f32 v4, v9, 0xbf5db3d7, v49
	s_delay_alu instid0(VALU_DEP_3)
	v_dual_fmac_f32 v49, 0x3f5db3d7, v9 :: v_dual_lshlrev_b32 v6, 3, v3
	v_fmamk_f32 v3, v5, 0x3f5db3d7, v48
	v_fmac_f32_e32 v48, 0xbf5db3d7, v5
	v_mad_u16 v5, v29, 9, v59
	v_sub_f32_e32 v9, v62, v24
	scratch_store_b32 off, v11, off offset:340 ; 4-byte Folded Spill
	ds_store_2addr_b64 v6, v[1:2], v[3:4] offset1:3
	v_dual_add_f32 v1, v51, v62 :: v_dual_add_f32 v4, v62, v24
	v_add_f32_e32 v3, v23, v63
	v_and_b32_e32 v5, 0xffff, v5
	ds_store_b64 v6, v[48:49] offset:48
	v_dual_add_f32 v2, v1, v24 :: v_dual_add_f32 v1, v50, v23
	v_fma_f32 v3, -0.5, v3, v50
	v_fma_f32 v4, -0.5, v4, v51
	v_lshlrev_b32_e32 v11, 3, v5
	scratch_store_b32 off, v6, off offset:336 ; 4-byte Folded Spill
	v_add_f32_e32 v1, v1, v63
	v_fmamk_f32 v5, v9, 0x3f5db3d7, v3
	v_dual_fmamk_f32 v6, v10, 0xbf5db3d7, v4 :: v_dual_fmac_f32 v3, 0xbf5db3d7, v9
	v_dual_fmac_f32 v4, 0x3f5db3d7, v10 :: v_dual_sub_f32 v9, v69, v25
	v_sub_f32_e32 v10, v31, v71
	ds_store_2addr_b64 v11, v[1:2], v[5:6] offset1:3
	v_add_f32_e32 v1, v53, v30
	ds_store_b64 v11, v[3:4] offset:48
	v_mad_u16 v3, v58, 9, v60
	v_add_f32_e32 v4, v30, v26
	v_dual_add_f32 v6, v69, v25 :: v_dual_sub_f32 v5, v30, v26
	v_dual_add_f32 v2, v1, v26 :: v_dual_add_f32 v1, v52, v69
	s_delay_alu instid0(VALU_DEP_3) | instskip(NEXT) | instid1(VALU_DEP_3)
	v_fmac_f32_e32 v53, -0.5, v4
	v_fma_f32 v52, -0.5, v6, v52
	v_and_b32_e32 v3, 0xffff, v3
	s_delay_alu instid0(VALU_DEP_4) | instskip(NEXT) | instid1(VALU_DEP_4)
	v_add_f32_e32 v1, v1, v25
	v_fmamk_f32 v4, v9, 0xbf5db3d7, v53
	s_delay_alu instid0(VALU_DEP_3)
	v_dual_fmac_f32 v53, 0x3f5db3d7, v9 :: v_dual_lshlrev_b32 v6, 3, v3
	v_fmamk_f32 v3, v5, 0x3f5db3d7, v52
	v_fmac_f32_e32 v52, 0xbf5db3d7, v5
	v_mad_u16 v5, v27, 9, v67
	v_sub_f32_e32 v9, v70, v32
	s_clause 0x1
	scratch_store_b32 off, v11, off offset:332
	scratch_store_b32 off, v6, off offset:328
	ds_store_2addr_b64 v6, v[1:2], v[3:4] offset1:3
	v_dual_add_f32 v1, v55, v70 :: v_dual_add_f32 v4, v70, v32
	v_add_f32_e32 v3, v31, v71
	v_and_b32_e32 v5, 0xffff, v5
	ds_store_b64 v6, v[52:53] offset:48
	v_dual_add_f32 v2, v1, v32 :: v_dual_add_f32 v1, v54, v31
	v_fma_f32 v3, -0.5, v3, v54
	v_fma_f32 v4, -0.5, v4, v55
	v_lshlrev_b32_e32 v11, 3, v5
	s_delay_alu instid0(VALU_DEP_4) | instskip(NEXT) | instid1(VALU_DEP_4)
	v_add_f32_e32 v1, v1, v71
	v_fmamk_f32 v5, v9, 0x3f5db3d7, v3
	s_delay_alu instid0(VALU_DEP_4)
	v_dual_fmamk_f32 v6, v10, 0xbf5db3d7, v4 :: v_dual_fmac_f32 v3, 0xbf5db3d7, v9
	v_dual_fmac_f32 v4, 0x3f5db3d7, v10 :: v_dual_sub_f32 v9, v73, v33
	ds_store_2addr_b64 v11, v[1:2], v[5:6] offset1:3
	v_add_f32_e32 v1, v57, v74
	ds_store_b64 v11, v[3:4] offset:48
	v_mad_u16 v3, v66, 9, v68
	v_add_f32_e32 v4, v74, v34
	v_dual_add_f32 v6, v73, v33 :: v_dual_sub_f32 v5, v74, v34
	v_dual_add_f32 v2, v1, v34 :: v_dual_add_f32 v1, v56, v73
	s_delay_alu instid0(VALU_DEP_3) | instskip(NEXT) | instid1(VALU_DEP_3)
	v_fmac_f32_e32 v57, -0.5, v4
	v_fma_f32 v56, -0.5, v6, v56
	v_and_b32_e32 v3, 0xffff, v3
	s_delay_alu instid0(VALU_DEP_4) | instskip(NEXT) | instid1(VALU_DEP_4)
	v_add_f32_e32 v1, v1, v33
	v_fmamk_f32 v4, v9, 0xbf5db3d7, v57
	s_delay_alu instid0(VALU_DEP_3)
	v_dual_fmac_f32 v57, 0x3f5db3d7, v9 :: v_dual_lshlrev_b32 v6, 3, v3
	v_fmamk_f32 v3, v5, 0x3f5db3d7, v56
	v_fmac_f32_e32 v56, 0xbf5db3d7, v5
	s_clause 0x1
	scratch_store_b32 off, v11, off offset:400
	scratch_store_b32 off, v6, off offset:404
	ds_store_2addr_b64 v6, v[1:2], v[3:4] offset1:3
	v_mul_f32_e32 v1, v8, v83
	ds_store_b64 v6, v[56:57] offset:48
	v_mad_u16 v4, v35, 9, v72
	v_dual_add_f32 v2, v41, v77 :: v_dual_mov_b32 v57, v106
	v_fma_f32 v3, v7, v82, -v1
	v_mul_f32_e32 v1, v7, v83
	s_delay_alu instid0(VALU_DEP_2) | instskip(NEXT) | instid1(VALU_DEP_2)
	v_add_f32_e32 v7, v75, v3
	v_dual_fmac_f32 v1, v8, v82 :: v_dual_sub_f32 v8, v75, v3
	s_delay_alu instid0(VALU_DEP_1) | instskip(SKIP_3) | instid1(VALU_DEP_4)
	v_add_f32_e32 v6, v77, v1
	v_sub_f32_e32 v5, v77, v1
	v_dual_add_f32 v2, v2, v1 :: v_dual_add_f32 v1, v40, v75
	v_fma_f32 v40, -0.5, v7, v40
	v_dual_fmac_f32 v41, -0.5, v6 :: v_dual_and_b32 v6, 0xffff, v4
	s_delay_alu instid0(VALU_DEP_3) | instskip(NEXT) | instid1(VALU_DEP_3)
	v_add_f32_e32 v1, v1, v3
	v_fmamk_f32 v3, v5, 0x3f5db3d7, v40
	s_delay_alu instid0(VALU_DEP_3) | instskip(NEXT) | instid1(VALU_DEP_4)
	v_fmamk_f32 v4, v8, 0xbf5db3d7, v41
	v_lshlrev_b32_e32 v6, 3, v6
	v_fmac_f32_e32 v40, 0xbf5db3d7, v5
	v_fmac_f32_e32 v41, 0x3f5db3d7, v8
	ds_store_2addr_b64 v6, v[1:2], v[3:4] offset1:3
	v_mul_u32_u24_e32 v1, 0xe38f, v89
	v_mul_lo_u16 v2, v90, 57
	scratch_store_b32 off, v6, off offset:408 ; 4-byte Folded Spill
	ds_store_b64 v6, v[40:41] offset:48
	s_waitcnt lgkmcnt(0)
	s_waitcnt_vscnt null, 0x0
	v_lshrrev_b32_e32 v1, 19, v1
	v_lshrrev_b16 v78, 9, v2
	s_barrier
	buffer_gl0_inv
	v_mul_lo_u16 v2, v1, 9
	s_delay_alu instid0(VALU_DEP_1) | instskip(SKIP_1) | instid1(VALU_DEP_2)
	v_sub_nc_u16 v77, v136, v2
	v_mul_lo_u16 v2, v78, 9
	v_lshlrev_b16 v3, 4, v77
	s_delay_alu instid0(VALU_DEP_2) | instskip(NEXT) | instid1(VALU_DEP_2)
	v_sub_nc_u16 v2, v65, v2
	v_and_b32_e32 v3, 0xffff, v3
	s_delay_alu instid0(VALU_DEP_2) | instskip(NEXT) | instid1(VALU_DEP_2)
	v_and_b32_e32 v79, 0xff, v2
	v_add_co_u32 v2, s2, s10, v3
	s_delay_alu instid0(VALU_DEP_1) | instskip(NEXT) | instid1(VALU_DEP_3)
	v_add_co_ci_u32_e64 v3, null, s11, 0, s2
	v_lshlrev_b32_e32 v4, 4, v79
	s_clause 0x1
	global_load_b128 v[16:19], v[2:3], off offset:48
	global_load_b128 v[8:11], v4, s[10:11] offset:48
	ds_load_2addr_b64 v[44:47], v174 offset0:6 offset1:249
	ds_load_2addr_b64 v[50:53], v236 offset0:6 offset1:249
	s_waitcnt vmcnt(0) lgkmcnt(1)
	v_mul_f32_e32 v2, v45, v11
	v_mul_f32_e32 v7, v44, v11
	v_dual_mov_b32 v87, v11 :: v_dual_mov_b32 v86, v10
	v_mov_b32_e32 v85, v9
	s_delay_alu instid0(VALU_DEP_4) | instskip(NEXT) | instid1(VALU_DEP_4)
	v_fma_f32 v6, v44, v10, -v2
	v_dual_mul_f32 v2, v47, v19 :: v_dual_fmac_f32 v7, v45, v10
	v_dual_mov_b32 v84, v8 :: v_dual_mul_f32 v11, v46, v19
	s_delay_alu instid0(VALU_DEP_2) | instskip(SKIP_1) | instid1(VALU_DEP_3)
	v_fma_f32 v10, v46, v18, -v2
	v_mul_u32_u24_e32 v2, 0xe38f, v135
	v_fmac_f32_e32 v11, v47, v18
	v_mov_b32_e32 v21, v19
	v_mov_b32_e32 v20, v18
	s_delay_alu instid0(VALU_DEP_4) | instskip(SKIP_3) | instid1(VALU_DEP_3)
	v_lshrrev_b32_e32 v12, 19, v2
	v_mul_u32_u24_e32 v2, 0xe38f, v132
	v_mov_b32_e32 v19, v17
	v_mov_b32_e32 v18, v16
	v_lshrrev_b32_e32 v13, 19, v2
	v_mul_lo_u16 v2, v12, 9
	s_waitcnt lgkmcnt(0)
	v_mul_f32_e32 v8, v51, v19
	v_mul_f32_e32 v17, v50, v19
	scratch_store_b128 off, v[18:21], off offset:436 ; 16-byte Folded Spill
	v_sub_nc_u16 v14, v234, v2
	v_mul_lo_u16 v2, v13, 9
	v_fma_f32 v16, v50, v18, -v8
	v_fmac_f32_e32 v17, v51, v18
	s_delay_alu instid0(VALU_DEP_3) | instskip(SKIP_1) | instid1(VALU_DEP_2)
	v_sub_nc_u16 v15, v206, v2
	v_lshlrev_b16 v2, 4, v14
	v_lshlrev_b16 v3, 4, v15
	s_delay_alu instid0(VALU_DEP_2) | instskip(NEXT) | instid1(VALU_DEP_2)
	v_and_b32_e32 v2, 0xffff, v2
	v_and_b32_e32 v4, 0xffff, v3
	s_delay_alu instid0(VALU_DEP_2) | instskip(NEXT) | instid1(VALU_DEP_1)
	v_add_co_u32 v2, s2, s10, v2
	v_add_co_ci_u32_e64 v3, null, s11, 0, s2
	s_delay_alu instid0(VALU_DEP_3) | instskip(NEXT) | instid1(VALU_DEP_1)
	v_add_co_u32 v4, s2, s10, v4
	v_add_co_ci_u32_e64 v5, null, s11, 0, s2
	s_clause 0x1
	global_load_b128 v[18:21], v[2:3], off offset:48
	global_load_b128 v[28:31], v[4:5], off offset:48
	ds_load_2addr_b64 v[58:61], v103 offset0:4 offset1:247
	s_waitcnt vmcnt(1)
	v_mov_b32_e32 v23, v21
	v_dual_mov_b32 v22, v20 :: v_dual_mov_b32 v21, v19
	v_mov_b32_e32 v20, v18
	s_delay_alu instid0(VALU_DEP_2)
	v_mul_f32_e32 v2, v53, v21
	v_mul_f32_e32 v19, v52, v21
	scratch_store_b128 off, v[20:23], off offset:452 ; 16-byte Folded Spill
	v_fma_f32 v18, v52, v20, -v2
	v_fmac_f32_e32 v19, v53, v20
	ds_load_2addr_b64 v[52:55], v161 offset0:12 offset1:255
	s_waitcnt lgkmcnt(0)
	v_mul_f32_e32 v2, v53, v23
	v_mul_f32_e32 v21, v52, v23
	s_waitcnt vmcnt(0)
	v_mul_f32_e32 v23, v54, v31
	s_delay_alu instid0(VALU_DEP_3) | instskip(NEXT) | instid1(VALU_DEP_3)
	v_fma_f32 v20, v52, v22, -v2
	v_dual_mul_f32 v2, v55, v31 :: v_dual_fmac_f32 v21, v53, v22
	s_delay_alu instid0(VALU_DEP_3) | instskip(NEXT) | instid1(VALU_DEP_2)
	v_fmac_f32_e32 v23, v55, v30
	v_fma_f32 v22, v54, v30, -v2
	v_mul_u32_u24_e32 v2, 0xe38f, v133
	v_mov_b32_e32 v33, v31
	v_dual_mov_b32 v32, v30 :: v_dual_mov_b32 v31, v29
	v_mov_b32_e32 v30, v28
	s_delay_alu instid0(VALU_DEP_4) | instskip(SKIP_1) | instid1(VALU_DEP_4)
	v_lshrrev_b32_e32 v24, 19, v2
	v_mul_u32_u24_e32 v2, 0xe38f, v134
	v_mul_f32_e32 v8, v59, v31
	v_mul_f32_e32 v29, v58, v31
	scratch_store_b128 off, v[30:33], off offset:676 ; 16-byte Folded Spill
	v_lshrrev_b32_e32 v25, 19, v2
	v_mul_lo_u16 v2, v24, 9
	v_fma_f32 v28, v58, v30, -v8
	v_fmac_f32_e32 v29, v59, v30
	s_delay_alu instid0(VALU_DEP_3) | instskip(SKIP_1) | instid1(VALU_DEP_1)
	v_sub_nc_u16 v26, v104, v2
	v_mul_lo_u16 v2, v25, 9
	v_sub_nc_u16 v27, v211, v2
	s_delay_alu instid0(VALU_DEP_3) | instskip(NEXT) | instid1(VALU_DEP_2)
	v_lshlrev_b16 v2, 4, v26
	v_lshlrev_b16 v3, 4, v27
	s_delay_alu instid0(VALU_DEP_2) | instskip(NEXT) | instid1(VALU_DEP_2)
	v_and_b32_e32 v2, 0xffff, v2
	v_and_b32_e32 v4, 0xffff, v3
	s_delay_alu instid0(VALU_DEP_2) | instskip(NEXT) | instid1(VALU_DEP_1)
	v_add_co_u32 v2, s2, s10, v2
	v_add_co_ci_u32_e64 v3, null, s11, 0, s2
	s_delay_alu instid0(VALU_DEP_3) | instskip(NEXT) | instid1(VALU_DEP_1)
	v_add_co_u32 v4, s2, s10, v4
	v_add_co_ci_u32_e64 v5, null, s11, 0, s2
	s_clause 0x1
	global_load_b128 v[30:33], v[2:3], off offset:48
	global_load_b128 v[249:252], v[4:5], off offset:48
	ds_load_2addr_b64 v[66:69], v220 offset0:10 offset1:253
	s_waitcnt vmcnt(1)
	v_mov_b32_e32 v35, v33
	v_dual_mov_b32 v34, v32 :: v_dual_mov_b32 v33, v31
	v_mov_b32_e32 v32, v30
	s_waitcnt vmcnt(0) lgkmcnt(0)
	v_mul_f32_e32 v8, v67, v250
	s_delay_alu instid0(VALU_DEP_3)
	v_dual_mul_f32 v39, v66, v250 :: v_dual_mul_f32 v2, v61, v33
	v_mul_f32_e32 v31, v60, v33
	scratch_store_b128 off, v[32:35], off offset:692 ; 16-byte Folded Spill
	v_fma_f32 v38, v66, v249, -v8
	v_fmac_f32_e32 v39, v67, v249
	v_fma_f32 v30, v60, v32, -v2
	v_fmac_f32_e32 v31, v61, v32
	ds_load_2addr_b64 v[60:63], v106 offset0:2 offset1:245
	s_waitcnt lgkmcnt(0)
	v_mul_f32_e32 v2, v61, v35
	v_mul_f32_e32 v33, v60, v35
	;; [unrolled: 1-line block ×3, first 2 shown]
	s_delay_alu instid0(VALU_DEP_3) | instskip(NEXT) | instid1(VALU_DEP_3)
	v_fma_f32 v32, v60, v34, -v2
	v_dual_mul_f32 v2, v63, v252 :: v_dual_fmac_f32 v33, v61, v34
	s_delay_alu instid0(VALU_DEP_3) | instskip(NEXT) | instid1(VALU_DEP_2)
	v_fmac_f32_e32 v35, v63, v251
	v_fma_f32 v34, v62, v251, -v2
	v_mul_u32_u24_e32 v2, 0xe38f, v235
	s_delay_alu instid0(VALU_DEP_1) | instskip(SKIP_1) | instid1(VALU_DEP_1)
	v_lshrrev_b32_e32 v36, 19, v2
	v_mul_u32_u24_e32 v2, 0xe38f, v0
	v_lshrrev_b32_e32 v80, 19, v2
	s_delay_alu instid0(VALU_DEP_3) | instskip(NEXT) | instid1(VALU_DEP_1)
	v_mul_lo_u16 v2, v36, 9
	v_sub_nc_u16 v37, v212, v2
	s_delay_alu instid0(VALU_DEP_3) | instskip(NEXT) | instid1(VALU_DEP_1)
	v_mul_lo_u16 v2, v80, 9
	v_sub_nc_u16 v81, v213, v2
	s_delay_alu instid0(VALU_DEP_3) | instskip(NEXT) | instid1(VALU_DEP_2)
	v_lshlrev_b16 v2, 4, v37
	v_lshlrev_b16 v3, 4, v81
	s_delay_alu instid0(VALU_DEP_2) | instskip(NEXT) | instid1(VALU_DEP_2)
	v_and_b32_e32 v2, 0xffff, v2
	v_and_b32_e32 v4, 0xffff, v3
	s_delay_alu instid0(VALU_DEP_2) | instskip(NEXT) | instid1(VALU_DEP_1)
	v_add_co_u32 v2, s2, s10, v2
	v_add_co_ci_u32_e64 v3, null, s11, 0, s2
	s_delay_alu instid0(VALU_DEP_3) | instskip(NEXT) | instid1(VALU_DEP_1)
	v_add_co_u32 v4, s2, s10, v4
	v_add_co_ci_u32_e64 v5, null, s11, 0, s2
	s_clause 0x1
	global_load_b128 v[245:248], v[2:3], off offset:48
	global_load_b128 v[241:244], v[4:5], off offset:48
	scratch_store_b128 off, v[84:87], off offset:488 ; 16-byte Folded Spill
	s_waitcnt vmcnt(1)
	v_mul_f32_e32 v2, v69, v246
	v_mul_f32_e32 v41, v68, v246
	s_delay_alu instid0(VALU_DEP_2) | instskip(NEXT) | instid1(VALU_DEP_2)
	v_fma_f32 v40, v68, v245, -v2
	v_fmac_f32_e32 v41, v69, v245
	ds_load_2addr_b64 v[68:71], v108 offset0:8 offset1:251
	s_waitcnt lgkmcnt(0)
	v_mul_f32_e32 v2, v69, v248
	s_waitcnt vmcnt(0)
	v_mul_f32_e32 v45, v70, v244
	v_mul_f32_e32 v43, v68, v248
	s_delay_alu instid0(VALU_DEP_3) | instskip(SKIP_1) | instid1(VALU_DEP_4)
	v_fma_f32 v42, v68, v247, -v2
	v_mul_f32_e32 v2, v71, v244
	v_fmac_f32_e32 v45, v71, v243
	s_delay_alu instid0(VALU_DEP_4) | instskip(SKIP_1) | instid1(VALU_DEP_4)
	v_dual_fmac_f32 v43, v69, v247 :: v_dual_mov_b32 v68, v104
	v_mov_b32_e32 v69, v57
	v_fma_f32 v44, v70, v243, -v2
	v_mul_u32_u24_e32 v2, 0xe38f, v233
	ds_load_2addr_b64 v[70:73], v109 offset1:243
	v_lshrrev_b32_e32 v82, 19, v2
	s_delay_alu instid0(VALU_DEP_1) | instskip(NEXT) | instid1(VALU_DEP_1)
	v_mul_lo_u16 v2, v82, 9
	v_sub_nc_u16 v83, v110, v2
	s_delay_alu instid0(VALU_DEP_1) | instskip(SKIP_3) | instid1(VALU_DEP_2)
	v_lshlrev_b16 v2, 4, v83
	s_waitcnt lgkmcnt(0)
	v_mul_f32_e32 v47, v70, v242
	v_mul_f32_e32 v4, v71, v242
	v_dual_fmac_f32 v47, v71, v241 :: v_dual_and_b32 v2, 0xffff, v2
	s_delay_alu instid0(VALU_DEP_2) | instskip(NEXT) | instid1(VALU_DEP_2)
	v_fma_f32 v46, v70, v241, -v4
	v_add_co_u32 v2, s2, s10, v2
	s_delay_alu instid0(VALU_DEP_1)
	v_add_co_ci_u32_e64 v3, null, s11, 0, s2
	global_load_b128 v[50:53], v[2:3], off offset:48
	s_waitcnt vmcnt(0)
	v_mul_f32_e32 v2, v73, v51
	v_dual_mul_f32 v49, v72, v51 :: v_dual_mov_b32 v56, v53
	v_mov_b32_e32 v55, v52
	s_delay_alu instid0(VALU_DEP_3) | instskip(NEXT) | instid1(VALU_DEP_3)
	v_fma_f32 v48, v72, v50, -v2
	v_fmac_f32_e32 v49, v73, v50
	ds_load_2addr_b64 v[72:75], v153 offset0:8 offset1:251
	s_waitcnt lgkmcnt(0)
	v_mul_f32_e32 v2, v75, v85
	s_delay_alu instid0(VALU_DEP_1) | instskip(SKIP_1) | instid1(VALU_DEP_1)
	v_fma_f32 v4, v74, v84, -v2
	v_mul_f32_e32 v2, v74, v85
	v_fmac_f32_e32 v2, v75, v84
	ds_load_2addr_b64 v[84:87], v64 offset1:243
	ds_load_b64 v[8:9], v64 offset:50544
	ds_load_2addr_b64 v[91:94], v160 offset0:6 offset1:249
	ds_load_2addr_b64 v[95:98], v218 offset0:12 offset1:255
	ds_load_2addr_b64 v[99:102], v170 offset0:2 offset1:245
	v_dual_mov_b32 v54, v51 :: v_dual_mov_b32 v53, v50
	v_add_f32_e32 v5, v2, v7
	v_dual_sub_f32 v50, v2, v7 :: v_dual_sub_f32 v51, v4, v6
	s_waitcnt lgkmcnt(0)
	s_waitcnt_vscnt null, 0x0
	s_barrier
	buffer_gl0_inv
	v_mov_b32_e32 v75, v174
	v_dual_add_f32 v3, v85, v2 :: v_dual_add_f32 v2, v84, v4
	v_fma_f32 v5, -0.5, v5, v85
	s_delay_alu instid0(VALU_DEP_2) | instskip(SKIP_2) | instid1(VALU_DEP_2)
	v_dual_add_f32 v3, v3, v7 :: v_dual_add_f32 v2, v2, v6
	v_add_f32_e32 v7, v4, v6
	v_and_b32_e32 v6, 0xffff, v78
	v_fma_f32 v4, -0.5, v7, v84
	s_delay_alu instid0(VALU_DEP_2) | instskip(SKIP_3) | instid1(VALU_DEP_4)
	v_mul_u32_u24_e32 v6, 27, v6
	v_fmamk_f32 v7, v51, 0xbf5db3d7, v5
	v_fmac_f32_e32 v5, 0x3f5db3d7, v51
	v_mov_b32_e32 v51, v103
	v_add_lshl_u32 v52, v6, v79, 3
	v_fmamk_f32 v6, v50, 0x3f5db3d7, v4
	v_fmac_f32_e32 v4, 0xbf5db3d7, v50
	scratch_store_b32 off, v52, off offset:468 ; 4-byte Folded Spill
	ds_store_2addr_b64 v52, v[2:3], v[6:7] offset1:9
	ds_store_b64 v52, v[4:5] offset:144
	v_mad_u16 v3, v1, 27, v77
	v_dual_add_f32 v1, v87, v17 :: v_dual_add_f32 v4, v17, v11
	v_dual_add_f32 v6, v16, v10 :: v_dual_sub_f32 v5, v17, v11
	s_delay_alu instid0(VALU_DEP_2) | instskip(SKIP_1) | instid1(VALU_DEP_3)
	v_dual_sub_f32 v7, v16, v10 :: v_dual_add_f32 v2, v1, v11
	v_add_f32_e32 v1, v86, v16
	v_fma_f32 v86, -0.5, v6, v86
	v_fmac_f32_e32 v87, -0.5, v4
	v_and_b32_e32 v3, 0xffff, v3
	s_delay_alu instid0(VALU_DEP_4) | instskip(NEXT) | instid1(VALU_DEP_3)
	v_dual_add_f32 v1, v1, v10 :: v_dual_sub_f32 v10, v18, v20
	v_fmamk_f32 v4, v7, 0xbf5db3d7, v87
	s_delay_alu instid0(VALU_DEP_3)
	v_dual_fmamk_f32 v3, v5, 0x3f5db3d7, v86 :: v_dual_lshlrev_b32 v6, 3, v3
	v_fmac_f32_e32 v86, 0xbf5db3d7, v5
	v_mad_u16 v5, v12, 27, v14
	v_fmac_f32_e32 v87, 0x3f5db3d7, v7
	v_sub_f32_e32 v7, v19, v21
	ds_store_2addr_b64 v6, v[1:2], v[3:4] offset1:9
	v_dual_add_f32 v1, v92, v19 :: v_dual_add_f32 v4, v19, v21
	v_add_f32_e32 v3, v18, v20
	v_and_b32_e32 v5, 0xffff, v5
	scratch_store_b32 off, v6, off offset:516 ; 4-byte Folded Spill
	v_dual_add_f32 v2, v1, v21 :: v_dual_add_f32 v1, v91, v18
	v_fma_f32 v3, -0.5, v3, v91
	v_fma_f32 v4, -0.5, v4, v92
	ds_store_b64 v6, v[86:87] offset:144
	v_lshlrev_b32_e32 v11, 3, v5
	v_add_f32_e32 v1, v1, v20
	v_fmamk_f32 v5, v7, 0x3f5db3d7, v3
	v_dual_fmamk_f32 v6, v10, 0xbf5db3d7, v4 :: v_dual_fmac_f32 v3, 0xbf5db3d7, v7
	v_fmac_f32_e32 v4, 0x3f5db3d7, v10
	v_dual_sub_f32 v7, v28, v22 :: v_dual_sub_f32 v10, v30, v32
	ds_store_2addr_b64 v11, v[1:2], v[5:6] offset1:9
	v_add_f32_e32 v1, v94, v29
	ds_store_b64 v11, v[3:4] offset:144
	v_mad_u16 v3, v13, 27, v15
	v_add_f32_e32 v4, v29, v23
	v_dual_add_f32 v6, v28, v22 :: v_dual_sub_f32 v5, v29, v23
	v_add_f32_e32 v2, v1, v23
	v_add_f32_e32 v1, v93, v28
	s_delay_alu instid0(VALU_DEP_4) | instskip(NEXT) | instid1(VALU_DEP_4)
	v_fmac_f32_e32 v94, -0.5, v4
	v_fma_f32 v93, -0.5, v6, v93
	v_and_b32_e32 v3, 0xffff, v3
	s_delay_alu instid0(VALU_DEP_3) | instskip(SKIP_1) | instid1(VALU_DEP_3)
	v_dual_add_f32 v1, v1, v22 :: v_dual_fmamk_f32 v4, v7, 0xbf5db3d7, v94
	v_fmac_f32_e32 v94, 0x3f5db3d7, v7
	v_dual_fmamk_f32 v3, v5, 0x3f5db3d7, v93 :: v_dual_lshlrev_b32 v6, 3, v3
	v_fmac_f32_e32 v93, 0xbf5db3d7, v5
	v_mad_u16 v5, v24, 27, v26
	v_sub_f32_e32 v7, v31, v33
	scratch_store_b32 off, v11, off offset:512 ; 4-byte Folded Spill
	ds_store_2addr_b64 v6, v[1:2], v[3:4] offset1:9
	v_dual_add_f32 v1, v96, v31 :: v_dual_add_f32 v4, v31, v33
	v_add_f32_e32 v3, v30, v32
	v_and_b32_e32 v5, 0xffff, v5
	ds_store_b64 v6, v[93:94] offset:144
	v_dual_add_f32 v2, v1, v33 :: v_dual_add_f32 v1, v95, v30
	v_fma_f32 v3, -0.5, v3, v95
	v_fma_f32 v4, -0.5, v4, v96
	v_lshlrev_b32_e32 v11, 3, v5
	scratch_store_b32 off, v6, off offset:508 ; 4-byte Folded Spill
	v_add_f32_e32 v1, v1, v32
	v_fmamk_f32 v5, v7, 0x3f5db3d7, v3
	v_dual_fmamk_f32 v6, v10, 0xbf5db3d7, v4 :: v_dual_fmac_f32 v3, 0xbf5db3d7, v7
	v_fmac_f32_e32 v4, 0x3f5db3d7, v10
	v_sub_f32_e32 v7, v38, v34
	v_sub_f32_e32 v10, v40, v42
	ds_store_2addr_b64 v11, v[1:2], v[5:6] offset1:9
	v_add_f32_e32 v1, v98, v39
	ds_store_b64 v11, v[3:4] offset:144
	v_mad_u16 v3, v25, 27, v27
	v_add_f32_e32 v4, v39, v35
	v_dual_add_f32 v6, v38, v34 :: v_dual_sub_f32 v5, v39, v35
	v_add_f32_e32 v2, v1, v35
	s_delay_alu instid0(VALU_DEP_3) | instskip(NEXT) | instid1(VALU_DEP_3)
	v_dual_add_f32 v1, v97, v38 :: v_dual_fmac_f32 v98, -0.5, v4
	v_fma_f32 v97, -0.5, v6, v97
	v_and_b32_e32 v3, 0xffff, v3
	scratch_store_b32 off, v11, off offset:504 ; 4-byte Folded Spill
	v_dual_add_f32 v1, v1, v34 :: v_dual_fmamk_f32 v4, v7, 0xbf5db3d7, v98
	v_fmac_f32_e32 v98, 0x3f5db3d7, v7
	v_dual_fmamk_f32 v3, v5, 0x3f5db3d7, v97 :: v_dual_lshlrev_b32 v6, 3, v3
	v_fmac_f32_e32 v97, 0xbf5db3d7, v5
	v_mad_u16 v5, v36, 27, v37
	v_sub_f32_e32 v7, v41, v43
	ds_store_2addr_b64 v6, v[1:2], v[3:4] offset1:9
	v_dual_add_f32 v1, v100, v41 :: v_dual_add_f32 v4, v41, v43
	v_add_f32_e32 v3, v40, v42
	v_and_b32_e32 v5, 0xffff, v5
	ds_store_b64 v6, v[97:98] offset:144
	v_dual_add_f32 v2, v1, v43 :: v_dual_add_f32 v1, v99, v40
	v_fma_f32 v3, -0.5, v3, v99
	v_fma_f32 v4, -0.5, v4, v100
	v_lshlrev_b32_e32 v11, 3, v5
	scratch_store_b32 off, v6, off offset:520 ; 4-byte Folded Spill
	v_add_f32_e32 v1, v1, v42
	v_fmamk_f32 v5, v7, 0x3f5db3d7, v3
	v_dual_fmamk_f32 v6, v10, 0xbf5db3d7, v4 :: v_dual_fmac_f32 v3, 0xbf5db3d7, v7
	v_dual_fmac_f32 v4, 0x3f5db3d7, v10 :: v_dual_sub_f32 v7, v46, v44
	ds_store_2addr_b64 v11, v[1:2], v[5:6] offset1:9
	v_add_f32_e32 v1, v102, v47
	ds_store_b64 v11, v[3:4] offset:144
	v_mad_u16 v3, v80, 27, v81
	v_add_f32_e32 v4, v47, v45
	v_dual_add_f32 v6, v46, v44 :: v_dual_sub_f32 v5, v47, v45
	v_add_f32_e32 v2, v1, v45
	s_delay_alu instid0(VALU_DEP_3) | instskip(NEXT) | instid1(VALU_DEP_3)
	v_dual_add_f32 v1, v101, v46 :: v_dual_fmac_f32 v102, -0.5, v4
	v_fma_f32 v101, -0.5, v6, v101
	v_and_b32_e32 v3, 0xffff, v3
	scratch_store_b128 off, v[53:56], off offset:708 ; 16-byte Folded Spill
	v_dual_add_f32 v1, v1, v44 :: v_dual_fmamk_f32 v4, v7, 0xbf5db3d7, v102
	v_fmac_f32_e32 v102, 0x3f5db3d7, v7
	v_dual_fmamk_f32 v3, v5, 0x3f5db3d7, v101 :: v_dual_lshlrev_b32 v6, 3, v3
	v_fmac_f32_e32 v101, 0xbf5db3d7, v5
	s_clause 0x1
	scratch_store_b32 off, v11, off offset:524
	scratch_store_b32 off, v6, off offset:528
	ds_store_2addr_b64 v6, v[1:2], v[3:4] offset1:9
	v_mul_f32_e32 v1, v8, v56
	v_mul_f32_e32 v2, v9, v56
	ds_store_b64 v6, v[101:102] offset:144
	v_mad_u16 v6, v82, 27, v83
	v_dual_mov_b32 v56, v110 :: v_dual_fmac_f32 v1, v9, v55
	v_fma_f32 v3, v8, v55, -v2
	v_add_f32_e32 v2, v73, v49
	s_delay_alu instid0(VALU_DEP_4) | instskip(NEXT) | instid1(VALU_DEP_3)
	v_and_b32_e32 v6, 0xffff, v6
	v_dual_add_f32 v4, v49, v1 :: v_dual_add_f32 v7, v48, v3
	v_sub_f32_e32 v5, v49, v1
	s_delay_alu instid0(VALU_DEP_4) | instskip(SKIP_1) | instid1(VALU_DEP_4)
	v_dual_add_f32 v2, v2, v1 :: v_dual_add_f32 v1, v72, v48
	v_sub_f32_e32 v8, v48, v3
	v_fma_f32 v72, -0.5, v7, v72
	v_dual_fmac_f32 v73, -0.5, v4 :: v_dual_lshlrev_b32 v6, 3, v6
	s_delay_alu instid0(VALU_DEP_4) | instskip(SKIP_1) | instid1(VALU_DEP_4)
	v_add_f32_e32 v1, v1, v3
	v_mov_b32_e32 v49, v109
	v_fmamk_f32 v3, v5, 0x3f5db3d7, v72
	s_delay_alu instid0(VALU_DEP_4)
	v_fmamk_f32 v4, v8, 0xbf5db3d7, v73
	v_fmac_f32_e32 v72, 0xbf5db3d7, v5
	v_fmac_f32_e32 v73, 0x3f5db3d7, v8
	scratch_store_b32 off, v6, off offset:532 ; 4-byte Folded Spill
	ds_store_2addr_b64 v6, v[1:2], v[3:4] offset1:9
	v_mul_u32_u24_e32 v1, 0x2f69, v89
	ds_store_b64 v6, v[72:73] offset:144
	s_waitcnt lgkmcnt(0)
	s_waitcnt_vscnt null, 0x0
	s_barrier
	buffer_gl0_inv
	v_lshrrev_b32_e32 v1, 16, v1
	s_delay_alu instid0(VALU_DEP_1) | instskip(NEXT) | instid1(VALU_DEP_1)
	v_sub_nc_u16 v2, v136, v1
	v_lshrrev_b16 v2, 1, v2
	s_delay_alu instid0(VALU_DEP_1) | instskip(NEXT) | instid1(VALU_DEP_1)
	v_add_nc_u16 v1, v2, v1
	v_lshrrev_b16 v91, 4, v1
	v_mul_lo_u16 v1, v90, 19
	s_delay_alu instid0(VALU_DEP_1) | instskip(NEXT) | instid1(VALU_DEP_3)
	v_lshrrev_b16 v97, 9, v1
	v_mul_lo_u16 v1, v91, 27
	s_delay_alu instid0(VALU_DEP_1) | instskip(NEXT) | instid1(VALU_DEP_3)
	v_sub_nc_u16 v96, v136, v1
	v_mul_lo_u16 v1, v97, 27
	s_delay_alu instid0(VALU_DEP_2) | instskip(NEXT) | instid1(VALU_DEP_2)
	v_lshlrev_b16 v2, 4, v96
	v_sub_nc_u16 v1, v65, v1
	s_delay_alu instid0(VALU_DEP_2) | instskip(NEXT) | instid1(VALU_DEP_2)
	v_and_b32_e32 v2, 0xffff, v2
	v_and_b32_e32 v98, 0xff, v1
	s_delay_alu instid0(VALU_DEP_2) | instskip(NEXT) | instid1(VALU_DEP_1)
	v_add_co_u32 v1, s2, s10, v2
	v_add_co_ci_u32_e64 v2, null, s11, 0, s2
	s_delay_alu instid0(VALU_DEP_3)
	v_lshlrev_b32_e32 v3, 4, v98
	s_clause 0x1
	global_load_b128 v[71:74], v[1:2], off offset:192
	global_load_b128 v[237:240], v3, s[10:11] offset:192
	ds_load_2addr_b64 v[80:83], v174 offset0:6 offset1:249
	ds_load_2addr_b64 v[92:95], v236 offset0:6 offset1:249
	s_waitcnt vmcnt(0) lgkmcnt(1)
	v_dual_mul_f32 v10, v82, v74 :: v_dual_mul_f32 v1, v81, v240
	v_mul_f32_e32 v6, v80, v240
	s_waitcnt lgkmcnt(0)
	v_mul_f32_e32 v7, v93, v72
	v_mul_f32_e32 v16, v92, v72
	v_fmac_f32_e32 v10, v83, v73
	v_fma_f32 v5, v80, v239, -v1
	v_dual_mul_f32 v1, v83, v74 :: v_dual_fmac_f32 v6, v81, v239
	v_fma_f32 v15, v92, v71, -v7
	v_fmac_f32_e32 v16, v93, v71
	s_delay_alu instid0(VALU_DEP_3) | instskip(SKIP_1) | instid1(VALU_DEP_1)
	v_fma_f32 v9, v82, v73, -v1
	v_mul_u32_u24_e32 v1, 0x2f69, v135
	v_lshrrev_b32_e32 v1, 16, v1
	s_delay_alu instid0(VALU_DEP_1) | instskip(NEXT) | instid1(VALU_DEP_1)
	v_sub_nc_u16 v2, v234, v1
	v_lshrrev_b16 v2, 1, v2
	s_delay_alu instid0(VALU_DEP_1) | instskip(SKIP_1) | instid1(VALU_DEP_2)
	v_add_nc_u16 v1, v2, v1
	v_mul_u32_u24_e32 v2, 0x2f69, v132
	v_lshrrev_b16 v11, 4, v1
	s_delay_alu instid0(VALU_DEP_2) | instskip(NEXT) | instid1(VALU_DEP_2)
	v_lshrrev_b32_e32 v2, 16, v2
	v_mul_lo_u16 v1, v11, 27
	s_delay_alu instid0(VALU_DEP_2) | instskip(NEXT) | instid1(VALU_DEP_2)
	v_sub_nc_u16 v3, v206, v2
	v_sub_nc_u16 v13, v234, v1
	s_delay_alu instid0(VALU_DEP_2) | instskip(NEXT) | instid1(VALU_DEP_1)
	v_lshrrev_b16 v3, 1, v3
	v_add_nc_u16 v2, v3, v2
	s_delay_alu instid0(VALU_DEP_1) | instskip(NEXT) | instid1(VALU_DEP_1)
	v_lshrrev_b16 v12, 4, v2
	v_mul_lo_u16 v1, v12, 27
	s_delay_alu instid0(VALU_DEP_1) | instskip(SKIP_1) | instid1(VALU_DEP_2)
	v_sub_nc_u16 v14, v206, v1
	v_lshlrev_b16 v1, 4, v13
	v_lshlrev_b16 v2, 4, v14
	s_delay_alu instid0(VALU_DEP_2) | instskip(NEXT) | instid1(VALU_DEP_2)
	v_and_b32_e32 v1, 0xffff, v1
	v_and_b32_e32 v3, 0xffff, v2
	s_delay_alu instid0(VALU_DEP_2) | instskip(NEXT) | instid1(VALU_DEP_1)
	v_add_co_u32 v1, s2, s10, v1
	v_add_co_ci_u32_e64 v2, null, s11, 0, s2
	s_delay_alu instid0(VALU_DEP_3) | instskip(NEXT) | instid1(VALU_DEP_1)
	v_add_co_u32 v3, s2, s10, v3
	v_add_co_ci_u32_e64 v4, null, s11, 0, s2
	s_clause 0x1
	global_load_b128 v[80:83], v[1:2], off offset:192
	global_load_b128 v[84:87], v[3:4], off offset:192
	s_waitcnt vmcnt(1)
	v_mul_f32_e32 v1, v95, v81
	v_mul_f32_e32 v18, v94, v81
	s_delay_alu instid0(VALU_DEP_2) | instskip(NEXT) | instid1(VALU_DEP_2)
	v_fma_f32 v17, v94, v80, -v1
	v_fmac_f32_e32 v18, v95, v80
	ds_load_2addr_b64 v[92:95], v161 offset0:12 offset1:255
	s_waitcnt lgkmcnt(0)
	v_mul_f32_e32 v1, v93, v83
	s_delay_alu instid0(VALU_DEP_1) | instskip(SKIP_2) | instid1(VALU_DEP_1)
	v_fma_f32 v19, v92, v82, -v1
	s_waitcnt vmcnt(0)
	v_mul_f32_e32 v1, v95, v87
	v_fma_f32 v21, v94, v86, -v1
	v_mul_u32_u24_e32 v1, 0x2f69, v133
	v_mul_f32_e32 v20, v92, v83
	s_delay_alu instid0(VALU_DEP_2) | instskip(NEXT) | instid1(VALU_DEP_1)
	v_lshrrev_b32_e32 v1, 16, v1
	v_sub_nc_u16 v2, v104, v1
	s_delay_alu instid0(VALU_DEP_1) | instskip(NEXT) | instid1(VALU_DEP_1)
	v_lshrrev_b16 v2, 1, v2
	v_add_nc_u16 v1, v2, v1
	v_mul_u32_u24_e32 v2, 0x2f69, v134
	s_delay_alu instid0(VALU_DEP_2) | instskip(NEXT) | instid1(VALU_DEP_2)
	v_lshrrev_b16 v23, 4, v1
	v_lshrrev_b32_e32 v2, 16, v2
	s_delay_alu instid0(VALU_DEP_2) | instskip(NEXT) | instid1(VALU_DEP_2)
	v_mul_lo_u16 v1, v23, 27
	v_sub_nc_u16 v3, v211, v2
	s_delay_alu instid0(VALU_DEP_2) | instskip(NEXT) | instid1(VALU_DEP_2)
	v_sub_nc_u16 v25, v104, v1
	v_lshrrev_b16 v3, 1, v3
	ds_load_2addr_b64 v[102:105], v103 offset0:4 offset1:247
	v_add_nc_u16 v2, v3, v2
	s_delay_alu instid0(VALU_DEP_1) | instskip(NEXT) | instid1(VALU_DEP_1)
	v_lshrrev_b16 v24, 4, v2
	v_mul_lo_u16 v1, v24, 27
	s_delay_alu instid0(VALU_DEP_1)
	v_sub_nc_u16 v26, v211, v1
	v_lshlrev_b16 v1, 4, v25
	s_waitcnt lgkmcnt(0)
	v_mul_f32_e32 v7, v103, v85
	v_mul_f32_e32 v28, v102, v85
	v_lshlrev_b16 v2, 4, v26
	v_and_b32_e32 v1, 0xffff, v1
	s_delay_alu instid0(VALU_DEP_4) | instskip(SKIP_4) | instid1(VALU_DEP_1)
	v_fma_f32 v27, v102, v84, -v7
	v_mul_f32_e32 v22, v94, v87
	v_fmac_f32_e32 v20, v93, v82
	v_and_b32_e32 v3, 0xffff, v2
	v_add_co_u32 v1, s2, s10, v1
	v_add_co_ci_u32_e64 v2, null, s11, 0, s2
	s_delay_alu instid0(VALU_DEP_3) | instskip(NEXT) | instid1(VALU_DEP_1)
	v_add_co_u32 v3, s2, s10, v3
	v_add_co_ci_u32_e64 v4, null, s11, 0, s2
	v_fmac_f32_e32 v22, v95, v86
	v_fmac_f32_e32 v28, v103, v84
	s_clause 0x1
	global_load_b128 v[92:95], v[1:2], off offset:192
	global_load_b128 v[100:103], v[3:4], off offset:192
	s_waitcnt vmcnt(1)
	v_mul_f32_e32 v1, v105, v93
	v_mul_f32_e32 v30, v104, v93
	s_delay_alu instid0(VALU_DEP_2) | instskip(NEXT) | instid1(VALU_DEP_2)
	v_fma_f32 v29, v104, v92, -v1
	v_fmac_f32_e32 v30, v105, v92
	ds_load_2addr_b64 v[104:107], v106 offset0:2 offset1:245
	s_waitcnt lgkmcnt(0)
	v_mul_f32_e32 v1, v105, v95
	v_mul_f32_e32 v32, v104, v95
	s_waitcnt vmcnt(0)
	v_mul_f32_e32 v34, v106, v103
	s_delay_alu instid0(VALU_DEP_3) | instskip(NEXT) | instid1(VALU_DEP_3)
	v_fma_f32 v31, v104, v94, -v1
	v_dual_mul_f32 v1, v107, v103 :: v_dual_fmac_f32 v32, v105, v94
	s_delay_alu instid0(VALU_DEP_3) | instskip(NEXT) | instid1(VALU_DEP_2)
	v_fmac_f32_e32 v34, v107, v102
	v_fma_f32 v33, v106, v102, -v1
	v_mul_u32_u24_e32 v1, 0x2f69, v235
	ds_load_2addr_b64 v[104:107], v220 offset0:10 offset1:253
	v_lshrrev_b32_e32 v1, 16, v1
	s_delay_alu instid0(VALU_DEP_1) | instskip(NEXT) | instid1(VALU_DEP_1)
	v_sub_nc_u16 v2, v212, v1
	v_lshrrev_b16 v2, 1, v2
	s_delay_alu instid0(VALU_DEP_1)
	v_add_nc_u16 v1, v2, v1
	v_mul_u32_u24_e32 v2, 0x2f69, v0
	s_waitcnt lgkmcnt(0)
	v_mul_f32_e32 v7, v105, v101
	v_mul_f32_e32 v40, v104, v101
	v_lshrrev_b16 v35, 4, v1
	v_lshrrev_b32_e32 v2, 16, v2
	s_delay_alu instid0(VALU_DEP_4) | instskip(NEXT) | instid1(VALU_DEP_4)
	v_fma_f32 v39, v104, v100, -v7
	v_fmac_f32_e32 v40, v105, v100
	v_mov_b32_e32 v50, v108
	v_mul_lo_u16 v1, v35, 27
	v_sub_nc_u16 v3, v213, v2
	s_delay_alu instid0(VALU_DEP_2) | instskip(NEXT) | instid1(VALU_DEP_2)
	v_sub_nc_u16 v37, v212, v1
	v_lshrrev_b16 v3, 1, v3
	s_delay_alu instid0(VALU_DEP_1) | instskip(NEXT) | instid1(VALU_DEP_1)
	v_add_nc_u16 v2, v3, v2
	v_lshrrev_b16 v36, 4, v2
	s_delay_alu instid0(VALU_DEP_1) | instskip(NEXT) | instid1(VALU_DEP_1)
	v_mul_lo_u16 v1, v36, 27
	v_sub_nc_u16 v38, v213, v1
	v_lshlrev_b16 v1, 4, v37
	s_delay_alu instid0(VALU_DEP_2) | instskip(NEXT) | instid1(VALU_DEP_2)
	v_lshlrev_b16 v2, 4, v38
	v_and_b32_e32 v1, 0xffff, v1
	s_delay_alu instid0(VALU_DEP_2) | instskip(NEXT) | instid1(VALU_DEP_2)
	v_and_b32_e32 v3, 0xffff, v2
	v_add_co_u32 v1, s2, s10, v1
	s_delay_alu instid0(VALU_DEP_1) | instskip(NEXT) | instid1(VALU_DEP_3)
	v_add_co_ci_u32_e64 v2, null, s11, 0, s2
	v_add_co_u32 v3, s2, s10, v3
	s_delay_alu instid0(VALU_DEP_1)
	v_add_co_ci_u32_e64 v4, null, s11, 0, s2
	s_clause 0x1
	global_load_b128 v[112:115], v[1:2], off offset:192
	global_load_b128 v[116:119], v[3:4], off offset:192
	s_waitcnt vmcnt(1)
	v_mul_f32_e32 v1, v107, v113
	v_mul_f32_e32 v42, v106, v113
	s_delay_alu instid0(VALU_DEP_2) | instskip(NEXT) | instid1(VALU_DEP_2)
	v_fma_f32 v41, v106, v112, -v1
	v_fmac_f32_e32 v42, v107, v112
	ds_load_2addr_b64 v[104:107], v108 offset0:8 offset1:251
	s_waitcnt lgkmcnt(0)
	v_mul_f32_e32 v1, v105, v115
	v_mul_f32_e32 v44, v104, v115
	s_waitcnt vmcnt(0)
	v_mul_f32_e32 v46, v106, v119
	s_delay_alu instid0(VALU_DEP_3) | instskip(NEXT) | instid1(VALU_DEP_3)
	v_fma_f32 v43, v104, v114, -v1
	v_dual_mul_f32 v1, v107, v119 :: v_dual_fmac_f32 v44, v105, v114
	s_delay_alu instid0(VALU_DEP_3) | instskip(NEXT) | instid1(VALU_DEP_2)
	v_fmac_f32_e32 v46, v107, v118
	v_fma_f32 v45, v106, v118, -v1
	v_mul_u32_u24_e32 v1, 0x2f69, v233
	ds_load_2addr_b64 v[104:107], v109 offset1:243
	v_lshrrev_b32_e32 v1, 16, v1
	s_delay_alu instid0(VALU_DEP_1) | instskip(NEXT) | instid1(VALU_DEP_1)
	v_sub_nc_u16 v2, v56, v1
	v_lshrrev_b16 v2, 1, v2
	s_delay_alu instid0(VALU_DEP_1) | instskip(SKIP_3) | instid1(VALU_DEP_3)
	v_add_nc_u16 v1, v2, v1
	s_waitcnt lgkmcnt(0)
	v_mul_f32_e32 v3, v105, v117
	v_mul_f32_e32 v54, v104, v117
	v_lshrrev_b16 v47, 4, v1
	s_delay_alu instid0(VALU_DEP_3) | instskip(NEXT) | instid1(VALU_DEP_3)
	v_fma_f32 v53, v104, v116, -v3
	v_fmac_f32_e32 v54, v105, v116
	s_delay_alu instid0(VALU_DEP_3) | instskip(NEXT) | instid1(VALU_DEP_1)
	v_mul_lo_u16 v1, v47, 27
	v_sub_nc_u16 v52, v56, v1
	s_delay_alu instid0(VALU_DEP_1) | instskip(NEXT) | instid1(VALU_DEP_1)
	v_lshlrev_b16 v1, 4, v52
	v_and_b32_e32 v1, 0xffff, v1
	s_delay_alu instid0(VALU_DEP_1) | instskip(NEXT) | instid1(VALU_DEP_1)
	v_add_co_u32 v1, s2, s10, v1
	v_add_co_ci_u32_e64 v2, null, s11, 0, s2
	global_load_b128 v[120:123], v[1:2], off offset:192
	s_waitcnt vmcnt(0)
	v_mul_f32_e32 v1, v107, v121
	v_mul_f32_e32 v66, v106, v121
	s_delay_alu instid0(VALU_DEP_2) | instskip(NEXT) | instid1(VALU_DEP_2)
	v_fma_f32 v55, v106, v120, -v1
	v_fmac_f32_e32 v66, v107, v120
	ds_load_2addr_b64 v[104:107], v153 offset0:8 offset1:251
	s_waitcnt lgkmcnt(0)
	v_mul_f32_e32 v1, v107, v238
	s_delay_alu instid0(VALU_DEP_1) | instskip(SKIP_1) | instid1(VALU_DEP_2)
	v_fma_f32 v3, v106, v237, -v1
	v_mul_f32_e32 v1, v106, v238
	v_sub_f32_e32 v77, v3, v5
	s_delay_alu instid0(VALU_DEP_2)
	v_fmac_f32_e32 v1, v107, v237
	ds_load_2addr_b64 v[106:109], v64 offset1:243
	v_sub_f32_e32 v67, v1, v6
	v_add_f32_e32 v4, v1, v6
	s_waitcnt lgkmcnt(0)
	v_dual_add_f32 v2, v107, v1 :: v_dual_add_f32 v1, v106, v3
	s_delay_alu instid0(VALU_DEP_2) | instskip(NEXT) | instid1(VALU_DEP_2)
	v_fma_f32 v4, -0.5, v4, v107
	v_dual_add_f32 v2, v2, v6 :: v_dual_add_f32 v1, v1, v5
	v_add_f32_e32 v6, v3, v5
	v_and_b32_e32 v5, 0xffff, v97
	s_delay_alu instid0(VALU_DEP_2) | instskip(NEXT) | instid1(VALU_DEP_2)
	v_fma_f32 v3, -0.5, v6, v106
	v_mul_u32_u24_e32 v5, 0x51, v5
	v_fmamk_f32 v6, v77, 0xbf5db3d7, v4
	s_delay_alu instid0(VALU_DEP_2) | instskip(NEXT) | instid1(VALU_DEP_4)
	v_add_lshl_u32 v48, v5, v98, 3
	v_fmamk_f32 v5, v67, 0x3f5db3d7, v3
	v_fmac_f32_e32 v3, 0xbf5db3d7, v67
	scratch_store_b32 off, v48, off offset:540 ; 4-byte Folded Spill
	ds_load_b64 v[7:8], v64 offset:50544
	ds_load_2addr_b64 v[124:127], v160 offset0:6 offset1:249
	ds_load_2addr_b64 v[128:131], v218 offset0:12 offset1:255
	;; [unrolled: 1-line block ×3, first 2 shown]
	s_waitcnt lgkmcnt(0)
	s_waitcnt_vscnt null, 0x0
	s_barrier
	buffer_gl0_inv
	ds_store_2addr_b64 v48, v[1:2], v[5:6] offset1:27
	v_dual_fmac_f32 v4, 0x3f5db3d7, v77 :: v_dual_add_f32 v1, v109, v16
	v_dual_add_f32 v6, v15, v9 :: v_dual_sub_f32 v5, v16, v10
	ds_store_b64 v48, v[3:4] offset:432
	v_mad_u16 v3, 0x51, v91, v96
	v_add_f32_e32 v4, v16, v10
	v_dual_add_f32 v2, v1, v10 :: v_dual_add_f32 v1, v108, v15
	v_fma_f32 v108, -0.5, v6, v108
	s_delay_alu instid0(VALU_DEP_4) | instskip(NEXT) | instid1(VALU_DEP_4)
	v_and_b32_e32 v3, 0xffff, v3
	v_dual_fmac_f32 v109, -0.5, v4 :: v_dual_sub_f32 v10, v17, v19
	s_delay_alu instid0(VALU_DEP_4) | instskip(NEXT) | instid1(VALU_DEP_3)
	v_add_f32_e32 v1, v1, v9
	v_dual_sub_f32 v9, v15, v9 :: v_dual_lshlrev_b32 v6, 3, v3
	v_fmamk_f32 v3, v5, 0x3f5db3d7, v108
	v_fmac_f32_e32 v108, 0xbf5db3d7, v5
	v_mad_u16 v5, 0x51, v11, v13
	s_delay_alu instid0(VALU_DEP_4)
	v_fmamk_f32 v4, v9, 0xbf5db3d7, v109
	v_fmac_f32_e32 v109, 0x3f5db3d7, v9
	v_sub_f32_e32 v9, v18, v20
	scratch_store_b32 off, v6, off offset:544 ; 4-byte Folded Spill
	v_and_b32_e32 v5, 0xffff, v5
	ds_store_2addr_b64 v6, v[1:2], v[3:4] offset1:27
	v_dual_add_f32 v4, v18, v20 :: v_dual_add_f32 v3, v17, v19
	v_add_f32_e32 v1, v125, v18
	ds_store_b64 v6, v[108:109] offset:432
	v_lshlrev_b32_e32 v11, 3, v5
	v_fma_f32 v4, -0.5, v4, v125
	v_fma_f32 v3, -0.5, v3, v124
	v_dual_add_f32 v2, v1, v20 :: v_dual_add_f32 v1, v124, v17
	s_delay_alu instid0(VALU_DEP_3) | instskip(NEXT) | instid1(VALU_DEP_3)
	v_fmamk_f32 v6, v10, 0xbf5db3d7, v4
	v_fmamk_f32 v5, v9, 0x3f5db3d7, v3
	v_fmac_f32_e32 v3, 0xbf5db3d7, v9
	s_delay_alu instid0(VALU_DEP_4)
	v_dual_fmac_f32 v4, 0x3f5db3d7, v10 :: v_dual_add_f32 v1, v1, v19
	v_dual_sub_f32 v9, v27, v21 :: v_dual_sub_f32 v10, v29, v31
	ds_store_b64 v11, v[3:4] offset:432
	v_add_f32_e32 v4, v28, v22
	ds_store_2addr_b64 v11, v[1:2], v[5:6] offset1:27
	v_mad_u16 v3, 0x51, v12, v14
	v_add_f32_e32 v1, v127, v28
	v_dual_add_f32 v6, v27, v21 :: v_dual_fmac_f32 v127, -0.5, v4
	s_delay_alu instid0(VALU_DEP_2) | instskip(SKIP_1) | instid1(VALU_DEP_3)
	v_dual_add_f32 v2, v1, v22 :: v_dual_and_b32 v3, 0xffff, v3
	v_add_f32_e32 v1, v126, v27
	v_fma_f32 v126, -0.5, v6, v126
	s_delay_alu instid0(VALU_DEP_4)
	v_fmamk_f32 v4, v9, 0xbf5db3d7, v127
	v_fmac_f32_e32 v127, 0x3f5db3d7, v9
	v_sub_f32_e32 v5, v28, v22
	v_dual_add_f32 v1, v1, v21 :: v_dual_lshlrev_b32 v6, 3, v3
	scratch_store_b32 off, v11, off offset:548 ; 4-byte Folded Spill
	v_fmamk_f32 v3, v5, 0x3f5db3d7, v126
	v_fmac_f32_e32 v126, 0xbf5db3d7, v5
	v_mad_u16 v5, 0x51, v23, v25
	ds_store_2addr_b64 v6, v[1:2], v[3:4] offset1:27
	v_add_f32_e32 v1, v129, v30
	v_add_f32_e32 v3, v29, v31
	v_and_b32_e32 v5, 0xffff, v5
	ds_store_b64 v6, v[126:127] offset:432
	v_dual_add_f32 v2, v1, v32 :: v_dual_add_f32 v1, v128, v29
	v_add_f32_e32 v4, v30, v32
	v_sub_f32_e32 v9, v30, v32
	v_fma_f32 v3, -0.5, v3, v128
	v_lshlrev_b32_e32 v11, 3, v5
	scratch_store_b32 off, v6, off offset:552 ; 4-byte Folded Spill
	v_fma_f32 v4, -0.5, v4, v129
	v_add_f32_e32 v1, v1, v31
	v_fmamk_f32 v5, v9, 0x3f5db3d7, v3
	v_fmac_f32_e32 v3, 0xbf5db3d7, v9
	s_delay_alu instid0(VALU_DEP_4)
	v_dual_sub_f32 v9, v39, v33 :: v_dual_fmamk_f32 v6, v10, 0xbf5db3d7, v4
	v_fmac_f32_e32 v4, 0x3f5db3d7, v10
	v_sub_f32_e32 v10, v41, v43
	ds_store_2addr_b64 v11, v[1:2], v[5:6] offset1:27
	ds_store_b64 v11, v[3:4] offset:432
	v_mad_u16 v3, 0x51, v24, v26
	v_dual_add_f32 v1, v131, v40 :: v_dual_add_f32 v4, v40, v34
	v_dual_add_f32 v6, v39, v33 :: v_dual_sub_f32 v5, v40, v34
	s_delay_alu instid0(VALU_DEP_2) | instskip(SKIP_1) | instid1(VALU_DEP_3)
	v_dual_add_f32 v2, v1, v34 :: v_dual_and_b32 v3, 0xffff, v3
	v_add_f32_e32 v1, v130, v39
	v_fma_f32 v130, -0.5, v6, v130
	s_delay_alu instid0(VALU_DEP_3)
	v_dual_fmac_f32 v131, -0.5, v4 :: v_dual_lshlrev_b32 v6, 3, v3
	scratch_store_b32 off, v11, off offset:556 ; 4-byte Folded Spill
	v_add_f32_e32 v1, v1, v33
	v_fmamk_f32 v3, v5, 0x3f5db3d7, v130
	v_fmamk_f32 v4, v9, 0xbf5db3d7, v131
	v_fmac_f32_e32 v130, 0xbf5db3d7, v5
	v_mad_u16 v5, 0x51, v35, v37
	v_fmac_f32_e32 v131, 0x3f5db3d7, v9
	v_sub_f32_e32 v9, v42, v44
	ds_store_2addr_b64 v6, v[1:2], v[3:4] offset1:27
	v_dual_add_f32 v4, v42, v44 :: v_dual_add_f32 v3, v41, v43
	v_dual_add_f32 v1, v137, v41 :: v_dual_add_f32 v2, v138, v42
	v_and_b32_e32 v11, 0xffff, v5
	s_delay_alu instid0(VALU_DEP_3) | instskip(NEXT) | instid1(VALU_DEP_4)
	v_fma_f32 v4, -0.5, v4, v138
	v_fma_f32 v3, -0.5, v3, v137
	ds_store_b64 v6, v[130:131] offset:432
	v_dual_add_f32 v1, v1, v43 :: v_dual_add_f32 v2, v2, v44
	v_lshlrev_b32_e32 v11, 3, v11
	scratch_store_b32 off, v6, off offset:560 ; 4-byte Folded Spill
	v_fmamk_f32 v5, v9, 0x3f5db3d7, v3
	v_dual_fmamk_f32 v6, v10, 0xbf5db3d7, v4 :: v_dual_fmac_f32 v3, 0xbf5db3d7, v9
	v_fmac_f32_e32 v4, 0x3f5db3d7, v10
	v_mov_b32_e32 v70, v50
	ds_store_2addr_b64 v11, v[1:2], v[5:6] offset1:27
	v_add_f32_e32 v1, v53, v45
	ds_store_b64 v11, v[3:4] offset:432
	v_dual_add_f32 v2, v139, v53 :: v_dual_add_f32 v3, v140, v54
	v_add_f32_e32 v4, v54, v46
	v_fma_f32 v139, -0.5, v1, v139
	v_sub_f32_e32 v5, v54, v46
	s_delay_alu instid0(VALU_DEP_4) | instskip(SKIP_2) | instid1(VALU_DEP_2)
	v_dual_add_f32 v1, v2, v45 :: v_dual_add_f32 v2, v3, v46
	v_mad_u16 v3, 0x51, v36, v38
	v_fmac_f32_e32 v140, -0.5, v4
	v_dual_sub_f32 v6, v53, v45 :: v_dual_and_b32 v9, 0xffff, v3
	v_fmamk_f32 v3, v5, 0x3f5db3d7, v139
	s_delay_alu instid0(VALU_DEP_2) | instskip(NEXT) | instid1(VALU_DEP_3)
	v_dual_fmamk_f32 v4, v6, 0xbf5db3d7, v140 :: v_dual_fmac_f32 v139, 0xbf5db3d7, v5
	v_dual_fmac_f32 v140, 0x3f5db3d7, v6 :: v_dual_lshlrev_b32 v9, 3, v9
	v_add_f32_e32 v5, v105, v66
	v_mad_u16 v6, 0x51, v47, v52
	ds_store_2addr_b64 v9, v[1:2], v[3:4] offset1:27
	v_mul_f32_e32 v1, v8, v123
	v_add_f32_e32 v4, v104, v55
	v_and_b32_e32 v6, 0xffff, v6
	ds_store_b64 v9, v[139:140] offset:432
	scratch_store_b32 off, v9, off offset:536 ; 4-byte Folded Spill
	v_fma_f32 v3, v7, v122, -v1
	v_dual_mul_f32 v1, v7, v123 :: v_dual_lshlrev_b32 v6, 3, v6
	scratch_store_b32 off, v11, off offset:564 ; 4-byte Folded Spill
	v_dual_add_f32 v2, v55, v3 :: v_dual_fmac_f32 v1, v8, v122
	scratch_store_b32 off, v6, off offset:568 ; 4-byte Folded Spill
	v_fma_f32 v104, -0.5, v2, v104
	v_add_f32_e32 v2, v66, v1
	v_sub_f32_e32 v7, v66, v1
	s_delay_alu instid0(VALU_DEP_2) | instskip(SKIP_2) | instid1(VALU_DEP_4)
	v_dual_fmac_f32 v105, -0.5, v2 :: v_dual_add_f32 v2, v5, v1
	v_sub_f32_e32 v5, v55, v3
	v_add_f32_e32 v1, v4, v3
	v_fmamk_f32 v3, v7, 0x3f5db3d7, v104
	v_fmac_f32_e32 v104, 0xbf5db3d7, v7
	s_delay_alu instid0(VALU_DEP_4)
	v_fmamk_f32 v4, v5, 0xbf5db3d7, v105
	v_fmac_f32_e32 v105, 0x3f5db3d7, v5
	ds_store_2addr_b64 v6, v[1:2], v[3:4] offset1:27
	v_mul_lo_u16 v1, 0xcb, v90
	v_mul_u32_u24_e32 v2, 0x6523, v89
	ds_store_b64 v6, v[104:105] offset:432
	s_waitcnt lgkmcnt(0)
	s_waitcnt_vscnt null, 0x0
	s_barrier
	v_lshrrev_b16 v139, 14, v1
	v_lshrrev_b32_e32 v137, 21, v2
	buffer_gl0_inv
	v_mul_lo_u16 v1, 0x51, v139
	v_mul_lo_u16 v2, 0x51, v137
	s_delay_alu instid0(VALU_DEP_2) | instskip(NEXT) | instid1(VALU_DEP_2)
	v_sub_nc_u16 v1, v65, v1
	v_sub_nc_u16 v138, v136, v2
	v_mov_b32_e32 v65, v161
	s_delay_alu instid0(VALU_DEP_3) | instskip(NEXT) | instid1(VALU_DEP_3)
	v_and_b32_e32 v5, 0xff, v1
	v_lshlrev_b16 v1, 4, v138
	s_delay_alu instid0(VALU_DEP_2) | instskip(NEXT) | instid1(VALU_DEP_2)
	v_lshlrev_b32_e32 v3, 4, v5
	v_and_b32_e32 v1, 0xffff, v1
	s_delay_alu instid0(VALU_DEP_1) | instskip(NEXT) | instid1(VALU_DEP_1)
	v_add_co_u32 v1, s2, s10, v1
	v_add_co_ci_u32_e64 v2, null, s11, 0, s2
	s_clause 0x1
	global_load_b128 v[96:99], v[1:2], off offset:624
	global_load_b128 v[60:63], v3, s[10:11] offset:624
	ds_load_2addr_b64 v[104:107], v174 offset0:6 offset1:249
	ds_load_2addr_b64 v[124:127], v236 offset0:6 offset1:249
	s_waitcnt vmcnt(1) lgkmcnt(1)
	v_mul_f32_e32 v10, v106, v99
	s_waitcnt vmcnt(0)
	v_mul_f32_e32 v1, v105, v63
	s_waitcnt lgkmcnt(0)
	v_dual_mul_f32 v7, v104, v63 :: v_dual_mul_f32 v8, v125, v97
	v_dual_mul_f32 v15, v124, v97 :: v_dual_fmac_f32 v10, v107, v98
	s_delay_alu instid0(VALU_DEP_3) | instskip(SKIP_1) | instid1(VALU_DEP_4)
	v_fma_f32 v6, v104, v62, -v1
	v_mul_f32_e32 v1, v107, v99
	v_fmac_f32_e32 v7, v105, v62
	v_fma_f32 v14, v124, v96, -v8
	v_fmac_f32_e32 v15, v125, v96
	s_delay_alu instid0(VALU_DEP_4) | instskip(SKIP_1) | instid1(VALU_DEP_1)
	v_fma_f32 v9, v106, v98, -v1
	v_mul_u32_u24_e32 v1, 0x6523, v135
	v_lshrrev_b32_e32 v148, 21, v1
	v_mul_u32_u24_e32 v1, 0x6523, v132
	s_delay_alu instid0(VALU_DEP_1) | instskip(NEXT) | instid1(VALU_DEP_3)
	v_lshrrev_b32_e32 v11, 21, v1
	v_mul_lo_u16 v1, 0x51, v148
	s_delay_alu instid0(VALU_DEP_1) | instskip(NEXT) | instid1(VALU_DEP_3)
	v_sub_nc_u16 v12, v234, v1
	v_mul_lo_u16 v1, 0x51, v11
	s_delay_alu instid0(VALU_DEP_1) | instskip(NEXT) | instid1(VALU_DEP_3)
	v_sub_nc_u16 v13, v206, v1
	v_lshlrev_b16 v1, 4, v12
	s_delay_alu instid0(VALU_DEP_2) | instskip(NEXT) | instid1(VALU_DEP_2)
	v_lshlrev_b16 v2, 4, v13
	v_and_b32_e32 v1, 0xffff, v1
	s_delay_alu instid0(VALU_DEP_2) | instskip(NEXT) | instid1(VALU_DEP_2)
	v_and_b32_e32 v3, 0xffff, v2
	v_add_co_u32 v1, s2, s10, v1
	s_delay_alu instid0(VALU_DEP_1) | instskip(NEXT) | instid1(VALU_DEP_3)
	v_add_co_ci_u32_e64 v2, null, s11, 0, s2
	v_add_co_u32 v3, s2, s10, v3
	s_delay_alu instid0(VALU_DEP_1)
	v_add_co_ci_u32_e64 v4, null, s11, 0, s2
	s_clause 0x1
	global_load_b128 v[104:107], v[1:2], off offset:624
	global_load_b128 v[108:111], v[3:4], off offset:624
	ds_load_2addr_b64 v[140:143], v51 offset0:4 offset1:247
	s_waitcnt vmcnt(1)
	v_mul_f32_e32 v1, v127, v105
	v_mul_f32_e32 v17, v126, v105
	s_waitcnt vmcnt(0) lgkmcnt(0)
	v_mul_f32_e32 v8, v141, v109
	v_mul_f32_e32 v27, v140, v109
	v_fma_f32 v16, v126, v104, -v1
	v_fmac_f32_e32 v17, v127, v104
	ds_load_2addr_b64 v[124:127], v161 offset0:12 offset1:255
	v_fma_f32 v26, v140, v108, -v8
	v_fmac_f32_e32 v27, v141, v108
	s_waitcnt lgkmcnt(0)
	v_mul_f32_e32 v1, v125, v107
	v_mul_f32_e32 v19, v124, v107
	;; [unrolled: 1-line block ×3, first 2 shown]
	s_delay_alu instid0(VALU_DEP_3) | instskip(SKIP_1) | instid1(VALU_DEP_4)
	v_fma_f32 v18, v124, v106, -v1
	v_mul_f32_e32 v1, v127, v111
	v_fmac_f32_e32 v19, v125, v106
	s_delay_alu instid0(VALU_DEP_4) | instskip(SKIP_1) | instid1(VALU_DEP_4)
	v_fmac_f32_e32 v21, v127, v110
	v_mov_b32_e32 v59, v153
	v_fma_f32 v20, v126, v110, -v1
	v_mul_u32_u24_e32 v1, 0x6523, v133
	s_delay_alu instid0(VALU_DEP_1) | instskip(SKIP_1) | instid1(VALU_DEP_1)
	v_lshrrev_b32_e32 v22, 21, v1
	v_mul_u32_u24_e32 v1, 0x6523, v134
	v_lshrrev_b32_e32 v23, 21, v1
	s_delay_alu instid0(VALU_DEP_3) | instskip(NEXT) | instid1(VALU_DEP_1)
	v_mul_lo_u16 v1, 0x51, v22
	v_sub_nc_u16 v24, v68, v1
	s_delay_alu instid0(VALU_DEP_3) | instskip(NEXT) | instid1(VALU_DEP_1)
	v_mul_lo_u16 v1, 0x51, v23
	v_sub_nc_u16 v25, v211, v1
	s_delay_alu instid0(VALU_DEP_3) | instskip(NEXT) | instid1(VALU_DEP_2)
	v_lshlrev_b16 v1, 4, v24
	v_lshlrev_b16 v2, 4, v25
	s_delay_alu instid0(VALU_DEP_2) | instskip(NEXT) | instid1(VALU_DEP_2)
	v_and_b32_e32 v1, 0xffff, v1
	v_and_b32_e32 v3, 0xffff, v2
	s_delay_alu instid0(VALU_DEP_2) | instskip(NEXT) | instid1(VALU_DEP_1)
	v_add_co_u32 v1, s2, s10, v1
	v_add_co_ci_u32_e64 v2, null, s11, 0, s2
	s_delay_alu instid0(VALU_DEP_3) | instskip(NEXT) | instid1(VALU_DEP_1)
	v_add_co_u32 v3, s2, s10, v3
	v_add_co_ci_u32_e64 v4, null, s11, 0, s2
	s_clause 0x1
	global_load_b128 v[124:127], v[1:2], off offset:624
	global_load_b128 v[128:131], v[3:4], off offset:624
	ds_load_2addr_b64 v[149:152], v220 offset0:10 offset1:253
	s_waitcnt vmcnt(1)
	v_mul_f32_e32 v1, v143, v125
	v_mul_f32_e32 v29, v142, v125
	s_waitcnt vmcnt(0) lgkmcnt(0)
	v_mul_f32_e32 v39, v149, v129
	s_delay_alu instid0(VALU_DEP_3) | instskip(NEXT) | instid1(VALU_DEP_3)
	v_fma_f32 v28, v142, v124, -v1
	v_fmac_f32_e32 v29, v143, v124
	ds_load_2addr_b64 v[140:143], v57 offset0:2 offset1:245
	v_fmac_f32_e32 v39, v150, v128
	v_mov_b32_e32 v57, v170
	s_waitcnt lgkmcnt(0)
	v_mul_f32_e32 v1, v141, v127
	v_mul_f32_e32 v31, v140, v127
	;; [unrolled: 1-line block ×3, first 2 shown]
	s_delay_alu instid0(VALU_DEP_3) | instskip(SKIP_1) | instid1(VALU_DEP_4)
	v_fma_f32 v30, v140, v126, -v1
	v_mul_f32_e32 v1, v143, v131
	v_fmac_f32_e32 v31, v141, v126
	s_delay_alu instid0(VALU_DEP_4) | instskip(NEXT) | instid1(VALU_DEP_3)
	v_fmac_f32_e32 v33, v143, v130
	v_fma_f32 v32, v142, v130, -v1
	v_mul_u32_u24_e32 v1, 0x6523, v235
	s_delay_alu instid0(VALU_DEP_1) | instskip(SKIP_1) | instid1(VALU_DEP_1)
	v_lshrrev_b32_e32 v34, 21, v1
	v_mul_u32_u24_e32 v1, 0x6523, v0
	v_lshrrev_b32_e32 v35, 21, v1
	s_delay_alu instid0(VALU_DEP_3) | instskip(NEXT) | instid1(VALU_DEP_1)
	v_mul_lo_u16 v1, 0x51, v34
	v_sub_nc_u16 v36, v212, v1
	s_delay_alu instid0(VALU_DEP_3) | instskip(NEXT) | instid1(VALU_DEP_1)
	v_mul_lo_u16 v1, 0x51, v35
	v_sub_nc_u16 v37, v213, v1
	s_delay_alu instid0(VALU_DEP_3) | instskip(NEXT) | instid1(VALU_DEP_2)
	v_lshlrev_b16 v1, 4, v36
	v_lshlrev_b16 v2, 4, v37
	s_delay_alu instid0(VALU_DEP_2) | instskip(NEXT) | instid1(VALU_DEP_2)
	v_and_b32_e32 v1, 0xffff, v1
	v_and_b32_e32 v3, 0xffff, v2
	s_delay_alu instid0(VALU_DEP_2) | instskip(NEXT) | instid1(VALU_DEP_1)
	v_add_co_u32 v1, s2, s10, v1
	v_add_co_ci_u32_e64 v2, null, s11, 0, s2
	s_delay_alu instid0(VALU_DEP_3) | instskip(NEXT) | instid1(VALU_DEP_1)
	v_add_co_u32 v3, s2, s10, v3
	v_add_co_ci_u32_e64 v4, null, s11, 0, s2
	s_clause 0x1
	global_load_b128 v[140:143], v[1:2], off offset:624
	global_load_b128 v[144:147], v[3:4], off offset:624
	s_waitcnt vmcnt(1)
	v_mul_f32_e32 v1, v152, v141
	v_mul_f32_e32 v41, v151, v141
	;; [unrolled: 1-line block ×3, first 2 shown]
	s_delay_alu instid0(VALU_DEP_3) | instskip(NEXT) | instid1(VALU_DEP_3)
	v_fma_f32 v40, v151, v140, -v1
	v_fmac_f32_e32 v41, v152, v140
	s_delay_alu instid0(VALU_DEP_3)
	v_fma_f32 v38, v149, v128, -v8
	ds_load_2addr_b64 v[149:152], v50 offset0:8 offset1:251
	s_waitcnt lgkmcnt(0)
	v_dual_mov_b32 v50, v49 :: v_dual_mul_f32 v1, v150, v143
	v_mul_f32_e32 v43, v149, v143
	s_waitcnt vmcnt(0)
	v_mul_f32_e32 v45, v151, v147
	s_delay_alu instid0(VALU_DEP_3) | instskip(SKIP_2) | instid1(VALU_DEP_4)
	v_fma_f32 v42, v149, v142, -v1
	v_mul_f32_e32 v1, v152, v147
	v_fmac_f32_e32 v43, v150, v142
	v_fmac_f32_e32 v45, v152, v146
	s_delay_alu instid0(VALU_DEP_3) | instskip(SKIP_3) | instid1(VALU_DEP_1)
	v_fma_f32 v44, v151, v146, -v1
	v_mul_u32_u24_e32 v1, 0x6523, v233
	ds_load_2addr_b64 v[149:152], v49 offset1:243
	v_lshrrev_b32_e32 v46, 21, v1
	v_mul_lo_u16 v1, 0x51, v46
	s_delay_alu instid0(VALU_DEP_1) | instskip(NEXT) | instid1(VALU_DEP_1)
	v_sub_nc_u16 v47, v56, v1
	v_lshlrev_b16 v1, 4, v47
	s_waitcnt lgkmcnt(0)
	v_mul_f32_e32 v3, v150, v145
	v_mul_f32_e32 v53, v149, v145
	s_delay_alu instid0(VALU_DEP_3) | instskip(NEXT) | instid1(VALU_DEP_3)
	v_and_b32_e32 v1, 0xffff, v1
	v_fma_f32 v52, v149, v144, -v3
	s_delay_alu instid0(VALU_DEP_3) | instskip(NEXT) | instid1(VALU_DEP_3)
	v_fmac_f32_e32 v53, v150, v144
	v_add_co_u32 v1, s2, s10, v1
	s_delay_alu instid0(VALU_DEP_1) | instskip(SKIP_4) | instid1(VALU_DEP_2)
	v_add_co_ci_u32_e64 v2, null, s11, 0, s2
	global_load_b128 v[156:159], v[1:2], off offset:624
	s_waitcnt vmcnt(0)
	v_mul_f32_e32 v1, v152, v157
	v_mul_f32_e32 v55, v151, v157
	v_fma_f32 v54, v151, v156, -v1
	s_delay_alu instid0(VALU_DEP_2) | instskip(SKIP_3) | instid1(VALU_DEP_1)
	v_fmac_f32_e32 v55, v152, v156
	ds_load_2addr_b64 v[149:152], v153 offset0:8 offset1:251
	s_waitcnt lgkmcnt(0)
	v_mul_f32_e32 v1, v152, v61
	v_fma_f32 v3, v151, v60, -v1
	v_mul_f32_e32 v1, v151, v61
	s_delay_alu instid0(VALU_DEP_2) | instskip(NEXT) | instid1(VALU_DEP_2)
	v_sub_f32_e32 v67, v3, v6
	v_fmac_f32_e32 v1, v152, v60
	ds_load_2addr_b64 v[151:154], v64 offset1:243
	v_sub_f32_e32 v66, v1, v7
	v_add_f32_e32 v4, v1, v7
	s_waitcnt lgkmcnt(0)
	v_dual_add_f32 v2, v152, v1 :: v_dual_add_f32 v1, v151, v3
	s_delay_alu instid0(VALU_DEP_2) | instskip(NEXT) | instid1(VALU_DEP_2)
	v_fma_f32 v4, -0.5, v4, v152
	v_dual_add_f32 v2, v2, v7 :: v_dual_add_f32 v1, v1, v6
	v_dual_add_f32 v7, v3, v6 :: v_dual_and_b32 v6, 0xffff, v139
	s_delay_alu instid0(VALU_DEP_1) | instskip(NEXT) | instid1(VALU_DEP_2)
	v_fma_f32 v3, -0.5, v7, v151
	v_mul_u32_u24_e32 v6, 0xf3, v6
	s_delay_alu instid0(VALU_DEP_1) | instskip(NEXT) | instid1(VALU_DEP_3)
	v_add_lshl_u32 v49, v6, v5, 3
	v_fmamk_f32 v5, v66, 0x3f5db3d7, v3
	v_dual_fmamk_f32 v6, v67, 0xbf5db3d7, v4 :: v_dual_fmac_f32 v3, 0xbf5db3d7, v66
	v_fmac_f32_e32 v4, 0x3f5db3d7, v67
	scratch_store_b32 off, v49, off offset:604 ; 4-byte Folded Spill
	ds_load_b64 v[7:8], v64 offset:50544
	ds_load_2addr_b64 v[162:165], v160 offset0:6 offset1:249
	ds_load_2addr_b64 v[166:169], v218 offset0:12 offset1:255
	;; [unrolled: 1-line block ×3, first 2 shown]
	s_waitcnt lgkmcnt(0)
	s_waitcnt_vscnt null, 0x0
	s_barrier
	buffer_gl0_inv
	ds_store_2addr_b64 v49, v[1:2], v[5:6] offset1:81
	v_add_f32_e32 v1, v154, v15
	ds_store_b64 v49, v[3:4] offset:1296
	v_mad_u16 v3, 0xf3, v137, v138
	v_add_f32_e32 v4, v15, v10
	v_add_f32_e32 v6, v14, v9
	;; [unrolled: 1-line block ×4, first 2 shown]
	s_delay_alu instid0(VALU_DEP_4) | instskip(NEXT) | instid1(VALU_DEP_4)
	v_dual_sub_f32 v5, v15, v10 :: v_dual_fmac_f32 v154, -0.5, v4
	v_fma_f32 v153, -0.5, v6, v153
	v_and_b32_e32 v3, 0xffff, v3
	s_delay_alu instid0(VALU_DEP_4) | instskip(SKIP_2) | instid1(VALU_DEP_4)
	v_add_f32_e32 v1, v1, v9
	v_dual_sub_f32 v9, v14, v9 :: v_dual_sub_f32 v10, v16, v18
	v_lshlrev_b32_e32 v137, 4, v155
	v_dual_fmamk_f32 v3, v5, 0x3f5db3d7, v153 :: v_dual_lshlrev_b32 v6, 3, v3
	s_delay_alu instid0(VALU_DEP_3)
	v_dual_fmamk_f32 v4, v9, 0xbf5db3d7, v154 :: v_dual_fmac_f32 v153, 0xbf5db3d7, v5
	v_mad_u16 v5, 0xf3, v148, v12
	v_dual_fmac_f32 v154, 0x3f5db3d7, v9 :: v_dual_sub_f32 v9, v17, v19
	ds_store_2addr_b64 v6, v[1:2], v[3:4] offset1:81
	v_dual_add_f32 v1, v163, v17 :: v_dual_add_f32 v4, v17, v19
	v_add_f32_e32 v3, v16, v18
	v_and_b32_e32 v5, 0xffff, v5
	ds_store_b64 v6, v[153:154] offset:1296
	v_dual_add_f32 v2, v1, v19 :: v_dual_add_f32 v1, v162, v16
	v_fma_f32 v3, -0.5, v3, v162
	v_fma_f32 v4, -0.5, v4, v163
	v_lshlrev_b32_e32 v12, 3, v5
	scratch_store_b32 off, v6, off offset:572 ; 4-byte Folded Spill
	v_add_f32_e32 v1, v1, v18
	v_fmamk_f32 v5, v9, 0x3f5db3d7, v3
	v_dual_fmamk_f32 v6, v10, 0xbf5db3d7, v4 :: v_dual_fmac_f32 v3, 0xbf5db3d7, v9
	v_dual_fmac_f32 v4, 0x3f5db3d7, v10 :: v_dual_sub_f32 v9, v26, v20
	v_sub_f32_e32 v10, v28, v30
	ds_store_2addr_b64 v12, v[1:2], v[5:6] offset1:81
	v_add_f32_e32 v1, v165, v27
	ds_store_b64 v12, v[3:4] offset:1296
	v_mad_u16 v3, 0xf3, v11, v13
	v_add_f32_e32 v4, v27, v21
	v_dual_add_f32 v6, v26, v20 :: v_dual_sub_f32 v5, v27, v21
	v_dual_add_f32 v2, v1, v21 :: v_dual_add_f32 v1, v164, v26
	s_delay_alu instid0(VALU_DEP_3) | instskip(NEXT) | instid1(VALU_DEP_3)
	v_fmac_f32_e32 v165, -0.5, v4
	v_fma_f32 v164, -0.5, v6, v164
	v_and_b32_e32 v3, 0xffff, v3
	scratch_store_b32 off, v12, off offset:576 ; 4-byte Folded Spill
	v_add_f32_e32 v1, v1, v20
	v_fmamk_f32 v4, v9, 0xbf5db3d7, v165
	v_dual_fmac_f32 v165, 0x3f5db3d7, v9 :: v_dual_lshlrev_b32 v6, 3, v3
	v_fmamk_f32 v3, v5, 0x3f5db3d7, v164
	v_fmac_f32_e32 v164, 0xbf5db3d7, v5
	v_mad_u16 v5, 0xf3, v22, v24
	v_sub_f32_e32 v9, v29, v31
	v_mov_b32_e32 v49, v160
	ds_store_2addr_b64 v6, v[1:2], v[3:4] offset1:81
	v_dual_add_f32 v1, v167, v29 :: v_dual_add_f32 v4, v29, v31
	v_add_f32_e32 v3, v28, v30
	v_and_b32_e32 v5, 0xffff, v5
	ds_store_b64 v6, v[164:165] offset:1296
	v_dual_add_f32 v2, v1, v31 :: v_dual_add_f32 v1, v166, v28
	v_fma_f32 v3, -0.5, v3, v166
	v_fma_f32 v4, -0.5, v4, v167
	v_lshlrev_b32_e32 v11, 3, v5
	scratch_store_b32 off, v6, off offset:580 ; 4-byte Folded Spill
	v_add_f32_e32 v1, v1, v30
	v_fmamk_f32 v5, v9, 0x3f5db3d7, v3
	v_dual_fmamk_f32 v6, v10, 0xbf5db3d7, v4 :: v_dual_fmac_f32 v3, 0xbf5db3d7, v9
	v_fmac_f32_e32 v4, 0x3f5db3d7, v10
	v_sub_f32_e32 v10, v40, v42
	v_mov_b32_e32 v90, v59
	ds_store_2addr_b64 v11, v[1:2], v[5:6] offset1:81
	v_add_f32_e32 v1, v38, v32
	ds_store_b64 v11, v[3:4] offset:1296
	v_dual_add_f32 v2, v168, v38 :: v_dual_add_f32 v3, v169, v39
	v_add_f32_e32 v4, v39, v33
	v_fma_f32 v168, -0.5, v1, v168
	v_sub_f32_e32 v5, v39, v33
	s_delay_alu instid0(VALU_DEP_4) | instskip(SKIP_2) | instid1(VALU_DEP_2)
	v_dual_add_f32 v1, v2, v32 :: v_dual_add_f32 v2, v3, v33
	v_mad_u16 v3, 0xf3, v23, v25
	v_fmac_f32_e32 v169, -0.5, v4
	v_dual_sub_f32 v6, v38, v32 :: v_dual_and_b32 v9, 0xffff, v3
	v_fmamk_f32 v3, v5, 0x3f5db3d7, v168
	s_delay_alu instid0(VALU_DEP_2)
	v_fmamk_f32 v4, v6, 0xbf5db3d7, v169
	v_fmac_f32_e32 v168, 0xbf5db3d7, v5
	v_mad_u16 v5, 0xf3, v34, v36
	v_lshlrev_b32_e32 v9, 3, v9
	scratch_store_b32 off, v11, off offset:584 ; 4-byte Folded Spill
	v_fmac_f32_e32 v169, 0x3f5db3d7, v6
	v_and_b32_e32 v11, 0xffff, v5
	ds_store_2addr_b64 v9, v[1:2], v[3:4] offset1:81
	v_dual_add_f32 v4, v41, v43 :: v_dual_add_f32 v3, v40, v42
	ds_store_b64 v9, v[168:169] offset:1296
	v_dual_add_f32 v1, v170, v40 :: v_dual_add_f32 v2, v171, v41
	v_fma_f32 v4, -0.5, v4, v171
	v_fma_f32 v3, -0.5, v3, v170
	v_lshlrev_b32_e32 v11, 3, v11
	scratch_store_b32 off, v9, off offset:588 ; 4-byte Folded Spill
	v_sub_f32_e32 v9, v41, v43
	v_dual_add_f32 v1, v1, v42 :: v_dual_add_f32 v2, v2, v43
	v_fmamk_f32 v6, v10, 0xbf5db3d7, v4
	s_delay_alu instid0(VALU_DEP_3)
	v_dual_fmac_f32 v4, 0x3f5db3d7, v10 :: v_dual_fmamk_f32 v5, v9, 0x3f5db3d7, v3
	v_fmac_f32_e32 v3, 0xbf5db3d7, v9
	ds_store_2addr_b64 v11, v[1:2], v[5:6] offset1:81
	ds_store_b64 v11, v[3:4] offset:1296
	v_add_f32_e32 v1, v52, v44
	v_dual_add_f32 v2, v172, v52 :: v_dual_add_f32 v3, v173, v53
	v_add_f32_e32 v4, v53, v45
	v_sub_f32_e32 v5, v53, v45
	s_delay_alu instid0(VALU_DEP_4) | instskip(NEXT) | instid1(VALU_DEP_4)
	v_fma_f32 v172, -0.5, v1, v172
	v_dual_add_f32 v1, v2, v44 :: v_dual_add_f32 v2, v3, v45
	v_mad_u16 v3, 0xf3, v35, v37
	v_fmac_f32_e32 v173, -0.5, v4
	v_sub_f32_e32 v6, v52, v44
	s_delay_alu instid0(VALU_DEP_3) | instskip(SKIP_1) | instid1(VALU_DEP_3)
	v_dual_mov_b32 v52, v51 :: v_dual_and_b32 v9, 0xffff, v3
	v_fmamk_f32 v3, v5, 0x3f5db3d7, v172
	v_fmamk_f32 v4, v6, 0xbf5db3d7, v173
	v_dual_fmac_f32 v172, 0xbf5db3d7, v5 :: v_dual_add_f32 v5, v150, v55
	s_delay_alu instid0(VALU_DEP_4)
	v_lshlrev_b32_e32 v9, 3, v9
	v_fmac_f32_e32 v173, 0x3f5db3d7, v6
	scratch_store_b32 off, v11, off offset:592 ; 4-byte Folded Spill
	v_mov_b32_e32 v48, v52
	ds_store_2addr_b64 v9, v[1:2], v[3:4] offset1:81
	v_mul_f32_e32 v1, v8, v159
	v_mul_f32_e32 v4, v7, v159
	v_add_f32_e32 v2, v149, v54
	ds_store_b64 v9, v[172:173] offset:1296
	v_mov_b32_e32 v253, v48
	v_fma_f32 v3, v7, v158, -v1
	s_delay_alu instid0(VALU_DEP_1) | instskip(NEXT) | instid1(VALU_DEP_1)
	v_dual_fmac_f32 v4, v8, v158 :: v_dual_add_f32 v1, v54, v3
	v_add_f32_e32 v6, v55, v4
	v_sub_f32_e32 v7, v55, v4
	s_delay_alu instid0(VALU_DEP_3) | instskip(SKIP_3) | instid1(VALU_DEP_4)
	v_fma_f32 v149, -0.5, v1, v149
	v_dual_add_f32 v1, v2, v3 :: v_dual_add_f32 v2, v5, v4
	v_mad_u16 v5, 0xf3, v46, v47
	v_fmac_f32_e32 v150, -0.5, v6
	v_dual_sub_f32 v6, v54, v3 :: v_dual_fmamk_f32 v3, v7, 0x3f5db3d7, v149
	v_fmac_f32_e32 v149, 0xbf5db3d7, v7
	s_delay_alu instid0(VALU_DEP_4) | instskip(NEXT) | instid1(VALU_DEP_3)
	v_and_b32_e32 v5, 0xffff, v5
	v_fmamk_f32 v4, v6, 0xbf5db3d7, v150
	s_delay_alu instid0(VALU_DEP_2)
	v_dual_fmac_f32 v150, 0x3f5db3d7, v6 :: v_dual_lshlrev_b32 v5, 3, v5
	s_clause 0x1
	scratch_store_b32 off, v9, off offset:596
	scratch_store_b32 off, v5, off offset:600
	ds_store_2addr_b64 v5, v[1:2], v[3:4] offset1:81
	v_mul_u32_u24_e32 v1, 0xdb3, v135
	ds_store_b64 v5, v[149:150] offset:1296
	s_waitcnt lgkmcnt(0)
	s_waitcnt_vscnt null, 0x0
	s_barrier
	buffer_gl0_inv
	v_lshrrev_b32_e32 v1, 16, v1
	s_delay_alu instid0(VALU_DEP_1) | instskip(NEXT) | instid1(VALU_DEP_1)
	v_sub_nc_u16 v2, v234, v1
	v_lshrrev_b16 v2, 1, v2
	s_delay_alu instid0(VALU_DEP_1) | instskip(NEXT) | instid1(VALU_DEP_1)
	v_add_nc_u16 v1, v2, v1
	v_lshrrev_b16 v1, 7, v1
	s_delay_alu instid0(VALU_DEP_1) | instskip(NEXT) | instid1(VALU_DEP_1)
	v_mul_lo_u16 v1, 0xf3, v1
	v_sub_nc_u16 v19, v234, v1
	s_delay_alu instid0(VALU_DEP_1) | instskip(NEXT) | instid1(VALU_DEP_1)
	v_lshlrev_b16 v1, 4, v19
	v_and_b32_e32 v1, 0xffff, v1
	s_delay_alu instid0(VALU_DEP_1) | instskip(NEXT) | instid1(VALU_DEP_1)
	v_add_co_u32 v1, s2, s10, v1
	v_add_co_ci_u32_e64 v2, null, s11, 0, s2
	s_clause 0x1
	global_load_b128 v[152:155], v[1:2], off offset:1920
	global_load_b128 v[148:151], v137, s[10:11] offset:1920
	ds_load_2addr_b64 v[162:165], v174 offset0:6 offset1:249
	ds_load_2addr_b64 v[190:193], v64 offset1:243
	s_waitcnt vmcnt(0) lgkmcnt(1)
	v_mul_f32_e32 v2, v165, v151
	v_mul_f32_e32 v1, v163, v151
	v_mul_f32_e32 v21, v164, v151
	s_delay_alu instid0(VALU_DEP_3) | instskip(SKIP_1) | instid1(VALU_DEP_4)
	v_fma_f32 v20, v164, v150, -v2
	v_mul_u32_u24_e32 v2, 0xdb3, v132
	v_fma_f32 v3, v162, v150, -v1
	v_mul_f32_e32 v1, v162, v151
	v_fmac_f32_e32 v21, v165, v150
	s_delay_alu instid0(VALU_DEP_4) | instskip(NEXT) | instid1(VALU_DEP_3)
	v_lshrrev_b32_e32 v2, 16, v2
	v_fmac_f32_e32 v1, v163, v150
	s_delay_alu instid0(VALU_DEP_2) | instskip(NEXT) | instid1(VALU_DEP_1)
	v_sub_nc_u16 v4, v206, v2
	v_lshrrev_b16 v4, 1, v4
	s_delay_alu instid0(VALU_DEP_1) | instskip(SKIP_1) | instid1(VALU_DEP_2)
	v_add_nc_u16 v5, v4, v2
	v_mul_u32_u24_e32 v2, 0xdb3, v133
	v_lshrrev_b16 v5, 7, v5
	s_delay_alu instid0(VALU_DEP_2) | instskip(NEXT) | instid1(VALU_DEP_2)
	v_lshrrev_b32_e32 v2, 16, v2
	v_mul_lo_u16 v5, 0xf3, v5
	s_delay_alu instid0(VALU_DEP_2) | instskip(NEXT) | instid1(VALU_DEP_2)
	v_sub_nc_u16 v4, v68, v2
	v_sub_nc_u16 v24, v206, v5
	s_delay_alu instid0(VALU_DEP_2) | instskip(NEXT) | instid1(VALU_DEP_2)
	v_lshrrev_b16 v4, 1, v4
	v_lshlrev_b16 v5, 4, v24
	s_delay_alu instid0(VALU_DEP_2)
	v_add_nc_u16 v6, v4, v2
	v_mul_u32_u24_e32 v2, 0xdb3, v134
	ds_load_2addr_b64 v[132:135], v59 offset0:8 offset1:251
	v_and_b32_e32 v5, 0xffff, v5
	v_lshrrev_b16 v6, 7, v6
	v_lshrrev_b32_e32 v2, 16, v2
	s_delay_alu instid0(VALU_DEP_3) | instskip(NEXT) | instid1(VALU_DEP_2)
	v_add_co_u32 v5, s2, s10, v5
	v_sub_nc_u16 v4, v211, v2
	s_delay_alu instid0(VALU_DEP_4) | instskip(NEXT) | instid1(VALU_DEP_2)
	v_mul_lo_u16 v6, 0xf3, v6
	v_lshrrev_b16 v4, 1, v4
	s_delay_alu instid0(VALU_DEP_2) | instskip(NEXT) | instid1(VALU_DEP_2)
	v_sub_nc_u16 v25, v68, v6
	v_add_nc_u16 v7, v4, v2
	v_mul_u32_u24_e32 v2, 0xdb3, v235
	s_delay_alu instid0(VALU_DEP_3) | instskip(NEXT) | instid1(VALU_DEP_3)
	v_lshlrev_b16 v6, 4, v25
	v_lshrrev_b16 v7, 7, v7
	s_delay_alu instid0(VALU_DEP_3) | instskip(NEXT) | instid1(VALU_DEP_2)
	v_lshrrev_b32_e32 v2, 16, v2
	v_mul_lo_u16 v7, 0xf3, v7
	s_delay_alu instid0(VALU_DEP_2) | instskip(NEXT) | instid1(VALU_DEP_2)
	v_sub_nc_u16 v4, v212, v2
	v_sub_nc_u16 v26, v211, v7
	s_delay_alu instid0(VALU_DEP_2) | instskip(SKIP_1) | instid1(VALU_DEP_3)
	v_lshrrev_b16 v4, 1, v4
	v_and_b32_e32 v7, 0xffff, v6
	v_lshlrev_b16 v6, 4, v26
	s_delay_alu instid0(VALU_DEP_3) | instskip(SKIP_2) | instid1(VALU_DEP_3)
	v_add_nc_u16 v8, v4, v2
	v_mul_u32_u24_e32 v2, 0xdb3, v0
	v_mul_u32_u24_e32 v0, 0x6799, v0
	v_lshrrev_b16 v8, 7, v8
	s_delay_alu instid0(VALU_DEP_3) | instskip(NEXT) | instid1(VALU_DEP_3)
	v_lshrrev_b32_e32 v2, 16, v2
	v_lshrrev_b32_e32 v0, 16, v0
	s_delay_alu instid0(VALU_DEP_3) | instskip(NEXT) | instid1(VALU_DEP_3)
	v_mul_lo_u16 v8, 0xf3, v8
	v_sub_nc_u16 v4, v213, v2
	s_delay_alu instid0(VALU_DEP_2) | instskip(NEXT) | instid1(VALU_DEP_2)
	v_sub_nc_u16 v27, v212, v8
	v_lshrrev_b16 v4, 1, v4
	s_delay_alu instid0(VALU_DEP_1) | instskip(SKIP_1) | instid1(VALU_DEP_2)
	v_add_nc_u16 v9, v4, v2
	v_mul_u32_u24_e32 v2, 0xdb3, v233
	v_lshrrev_b16 v9, 7, v9
	s_delay_alu instid0(VALU_DEP_2) | instskip(NEXT) | instid1(VALU_DEP_2)
	v_lshrrev_b32_e32 v2, 16, v2
	v_mul_lo_u16 v9, 0xf3, v9
	s_delay_alu instid0(VALU_DEP_2) | instskip(NEXT) | instid1(VALU_DEP_2)
	v_sub_nc_u16 v4, v56, v2
	v_sub_nc_u16 v28, v213, v9
	s_delay_alu instid0(VALU_DEP_2) | instskip(SKIP_2) | instid1(VALU_DEP_3)
	v_lshrrev_b16 v4, 1, v4
	v_and_b32_e32 v9, 0xffff, v6
	v_lshlrev_b16 v6, 4, v27
	v_add_nc_u16 v10, v4, v2
	s_waitcnt lgkmcnt(0)
	v_mul_f32_e32 v2, v135, v149
	s_delay_alu instid0(VALU_DEP_2) | instskip(NEXT) | instid1(VALU_DEP_2)
	v_lshrrev_b16 v10, 7, v10
	v_fma_f32 v4, v134, v148, -v2
	v_mul_f32_e32 v2, v134, v149
	s_delay_alu instid0(VALU_DEP_3) | instskip(NEXT) | instid1(VALU_DEP_2)
	v_mul_lo_u16 v10, 0xf3, v10
	v_dual_sub_f32 v23, v4, v3 :: v_dual_fmac_f32 v2, v135, v148
	s_delay_alu instid0(VALU_DEP_2) | instskip(NEXT) | instid1(VALU_DEP_2)
	v_sub_nc_u16 v29, v56, v10
	v_dual_add_f32 v11, v191, v2 :: v_dual_sub_f32 v22, v2, v1
	v_add_f32_e32 v12, v2, v1
	s_delay_alu instid0(VALU_DEP_2) | instskip(SKIP_1) | instid1(VALU_DEP_3)
	v_dual_add_f32 v2, v11, v1 :: v_dual_add_f32 v1, v190, v4
	v_add_f32_e32 v11, v4, v3
	v_fma_f32 v4, -0.5, v12, v191
	s_delay_alu instid0(VALU_DEP_3) | instskip(NEXT) | instid1(VALU_DEP_3)
	v_add_f32_e32 v1, v1, v3
	v_fma_f32 v3, -0.5, v11, v190
	v_and_b32_e32 v11, 0xffff, v6
	v_lshlrev_b16 v6, 4, v28
	v_fmamk_f32 v18, v23, 0xbf5db3d7, v4
	s_delay_alu instid0(VALU_DEP_4) | instskip(SKIP_1) | instid1(VALU_DEP_4)
	v_dual_fmac_f32 v4, 0x3f5db3d7, v23 :: v_dual_fmamk_f32 v17, v22, 0x3f5db3d7, v3
	v_fmac_f32_e32 v3, 0xbf5db3d7, v22
	v_and_b32_e32 v13, 0xffff, v6
	v_lshlrev_b16 v6, 4, v29
	s_delay_alu instid0(VALU_DEP_1) | instskip(SKIP_2) | instid1(VALU_DEP_1)
	v_and_b32_e32 v15, 0xffff, v6
	v_add_co_ci_u32_e64 v6, null, s11, 0, s2
	v_add_co_u32 v7, s2, s10, v7
	v_add_co_ci_u32_e64 v8, null, s11, 0, s2
	v_add_co_u32 v9, s2, s10, v9
	s_delay_alu instid0(VALU_DEP_1) | instskip(SKIP_1) | instid1(VALU_DEP_1)
	v_add_co_ci_u32_e64 v10, null, s11, 0, s2
	v_add_co_u32 v11, s2, s10, v11
	v_add_co_ci_u32_e64 v12, null, s11, 0, s2
	v_add_co_u32 v13, s2, s10, v13
	s_delay_alu instid0(VALU_DEP_1) | instskip(SKIP_1) | instid1(VALU_DEP_1)
	v_add_co_ci_u32_e64 v14, null, s11, 0, s2
	v_add_co_u32 v15, s2, s10, v15
	v_add_co_ci_u32_e64 v16, null, s11, 0, s2
	s_clause 0x5
	global_load_b128 v[164:167], v[5:6], off offset:1920
	global_load_b128 v[168:171], v[7:8], off offset:1920
	;; [unrolled: 1-line block ×6, first 2 shown]
	ds_load_b64 v[5:6], v64 offset:50544
	ds_load_2addr_b64 v[194:197], v236 offset0:6 offset1:249
	ds_load_2addr_b64 v[198:201], v160 offset0:6 offset1:249
	ds_load_2addr_b64 v[207:210], v161 offset0:12 offset1:255
	ds_load_2addr_b64 v[214:217], v51 offset0:4 offset1:247
	ds_load_2addr_b64 v[221:224], v218 offset0:12 offset1:255
	ds_load_2addr_b64 v[225:228], v69 offset0:2 offset1:245
	ds_load_2addr_b64 v[229:232], v220 offset0:10 offset1:253
	ds_load_2addr_b64 v[188:191], v57 offset0:2 offset1:245
	ds_load_2addr_b64 v[202:205], v70 offset0:8 offset1:251
	ds_load_2addr_b64 v[160:163], v50 offset1:243
	s_waitcnt vmcnt(0) lgkmcnt(0)
	s_barrier
	buffer_gl0_inv
	ds_store_2addr_b64 v64, v[1:2], v[17:18] offset1:243
	v_mul_f32_e32 v1, v195, v149
	v_mul_f32_e32 v8, v194, v149
	s_delay_alu instid0(VALU_DEP_2) | instskip(NEXT) | instid1(VALU_DEP_1)
	v_fma_f32 v7, v194, v148, -v1
	v_dual_fmac_f32 v8, v195, v148 :: v_dual_add_f32 v1, v192, v7
	s_delay_alu instid0(VALU_DEP_1) | instskip(NEXT) | instid1(VALU_DEP_1)
	v_add_f32_e32 v2, v193, v8
	v_dual_add_f32 v1, v1, v20 :: v_dual_add_f32 v2, v2, v21
	ds_store_2addr_b64 v49, v[3:4], v[1:2] offset0:6 offset1:249
	v_dual_add_f32 v3, v7, v20 :: v_dual_sub_f32 v2, v8, v21
	s_delay_alu instid0(VALU_DEP_1)
	v_fma_f32 v192, -0.5, v3, v192
	v_mul_f32_e32 v10, v209, v167
	v_mul_f32_e32 v12, v214, v165
	;; [unrolled: 1-line block ×4, first 2 shown]
	v_dual_mul_f32 v18, v227, v175 :: v_dual_mul_f32 v37, v162, v185
	v_fmac_f32_e32 v10, v210, v166
	v_fmac_f32_e32 v12, v215, v164
	;; [unrolled: 1-line block ×3, first 2 shown]
	s_delay_alu instid0(VALU_DEP_4)
	v_dual_fmac_f32 v16, v226, v170 :: v_dual_fmac_f32 v37, v163, v184
	v_sub_f32_e32 v3, v7, v20
	v_dual_mul_f32 v7, v210, v167 :: v_dual_fmac_f32 v18, v228, v174
	v_mul_f32_e32 v23, v231, v177
	v_mul_f32_e32 v31, v202, v179
	;; [unrolled: 1-line block ×3, first 2 shown]
	s_delay_alu instid0(VALU_DEP_4)
	v_fma_f32 v9, v209, v166, -v7
	v_mul_f32_e32 v7, v215, v165
	v_fmac_f32_e32 v23, v232, v176
	v_fmac_f32_e32 v31, v203, v178
	v_mul_f32_e32 v33, v204, v183
	v_fmac_f32_e32 v35, v161, v180
	v_fma_f32 v11, v214, v164, -v7
	v_mul_f32_e32 v7, v217, v169
	s_delay_alu instid0(VALU_DEP_4) | instskip(NEXT) | instid1(VALU_DEP_2)
	v_fmac_f32_e32 v33, v205, v182
	v_fma_f32 v13, v216, v168, -v7
	v_mul_f32_e32 v7, v226, v171
	s_delay_alu instid0(VALU_DEP_1) | instskip(SKIP_1) | instid1(VALU_DEP_1)
	v_fma_f32 v15, v225, v170, -v7
	v_mul_f32_e32 v7, v228, v175
	v_fma_f32 v17, v227, v174, -v7
	v_mul_f32_e32 v7, v230, v173
	s_delay_alu instid0(VALU_DEP_1) | instskip(SKIP_1) | instid1(VALU_DEP_1)
	v_fma_f32 v20, v229, v172, -v7
	v_mul_f32_e32 v7, v232, v177
	;; [unrolled: 5-line block ×3, first 2 shown]
	v_fma_f32 v32, v204, v182, -v7
	v_mul_f32_e32 v7, v161, v181
	s_delay_alu instid0(VALU_DEP_1) | instskip(SKIP_3) | instid1(VALU_DEP_3)
	v_fma_f32 v34, v160, v180, -v7
	v_add_f32_e32 v1, v8, v21
	v_mul_f32_e32 v7, v163, v185
	v_mul_f32_e32 v21, v229, v173
	v_fmac_f32_e32 v193, -0.5, v1
	v_fmamk_f32 v1, v2, 0x3f5db3d7, v192
	v_fmac_f32_e32 v192, 0xbf5db3d7, v2
	v_fma_f32 v36, v162, v184, -v7
	v_fmac_f32_e32 v21, v230, v172
	v_fmamk_f32 v2, v3, 0xbf5db3d7, v193
	v_fmac_f32_e32 v193, 0x3f5db3d7, v3
	ds_store_2addr_b64 v218, v[1:2], v[192:193] offset0:12 offset1:255
	v_dual_mul_f32 v1, v197, v153 :: v_dual_mul_f32 v2, v208, v155
	s_delay_alu instid0(VALU_DEP_1) | instskip(SKIP_1) | instid1(VALU_DEP_3)
	v_fma_f32 v3, v196, v152, -v1
	v_mul_f32_e32 v1, v196, v153
	v_fma_f32 v4, v207, v154, -v2
	s_delay_alu instid0(VALU_DEP_2) | instskip(NEXT) | instid1(VALU_DEP_1)
	v_dual_mul_f32 v2, v207, v155 :: v_dual_fmac_f32 v1, v197, v152
	v_dual_sub_f32 v39, v3, v4 :: v_dual_fmac_f32 v2, v208, v154
	s_delay_alu instid0(VALU_DEP_1) | instskip(SKIP_1) | instid1(VALU_DEP_2)
	v_dual_add_f32 v7, v199, v1 :: v_dual_sub_f32 v38, v1, v2
	v_dual_add_f32 v8, v1, v2 :: v_dual_add_f32 v1, v198, v3
	v_add_f32_e32 v2, v7, v2
	v_add_f32_e32 v7, v3, v4
	s_delay_alu instid0(VALU_DEP_3) | instskip(NEXT) | instid1(VALU_DEP_4)
	v_add_f32_e32 v1, v1, v4
	v_fma_f32 v4, -0.5, v8, v199
	s_delay_alu instid0(VALU_DEP_3) | instskip(SKIP_1) | instid1(VALU_DEP_3)
	v_fma_f32 v3, -0.5, v7, v198
	v_and_b32_e32 v7, 0xffff, v19
	v_fmamk_f32 v8, v39, 0xbf5db3d7, v4
	v_fmac_f32_e32 v4, 0x3f5db3d7, v39
	s_delay_alu instid0(VALU_DEP_3) | instskip(SKIP_2) | instid1(VALU_DEP_3)
	v_lshlrev_b32_e32 v19, 3, v7
	v_fmamk_f32 v7, v38, 0x3f5db3d7, v3
	v_fmac_f32_e32 v3, 0xbf5db3d7, v38
	v_dual_mov_b32 v40, v19 :: v_dual_add_nc_u32 v41, 0x2d80, v19
	v_sub_f32_e32 v19, v12, v10
	ds_store_2addr_b64 v41, v[1:2], v[7:8] offset0:2 offset1:245
	v_add_f32_e32 v1, v201, v12
	v_dual_add_f32 v7, v12, v10 :: v_dual_add_f32 v8, v11, v9
	scratch_store_b32 off, v41, off offset:608 ; 4-byte Folded Spill
	v_sub_f32_e32 v12, v14, v16
	v_dual_add_f32 v2, v1, v10 :: v_dual_add_f32 v1, v200, v11
	v_fmac_f32_e32 v201, -0.5, v7
	v_and_b32_e32 v7, 0xffff, v24
	v_sub_f32_e32 v11, v11, v9
	v_fma_f32 v200, -0.5, v8, v200
	v_add_f32_e32 v1, v1, v9
	s_delay_alu instid0(VALU_DEP_3) | instskip(NEXT) | instid1(VALU_DEP_3)
	v_dual_fmamk_f32 v8, v11, 0xbf5db3d7, v201 :: v_dual_lshlrev_b32 v9, 3, v7
	v_fmamk_f32 v7, v19, 0x3f5db3d7, v200
	v_fmac_f32_e32 v201, 0x3f5db3d7, v11
	v_and_b32_e32 v11, 0xffff, v27
	s_delay_alu instid0(VALU_DEP_4)
	v_dual_mov_b32 v41, v9 :: v_dual_add_nc_u32 v10, 0x4400, v9
	v_and_b32_e32 v9, 0xffff, v25
	v_dual_fmac_f32 v200, 0xbf5db3d7, v19 :: v_dual_mov_b32 v89, v49
	ds_store_2addr_b64 v10, v[1:2], v[7:8] offset0:11 offset1:254
	v_add_f32_e32 v1, v222, v14
	v_dual_add_f32 v8, v14, v16 :: v_dual_add_f32 v7, v13, v15
	v_lshlrev_b32_e32 v14, 3, v9
	s_delay_alu instid0(VALU_DEP_3) | instskip(SKIP_4) | instid1(VALU_DEP_4)
	v_add_f32_e32 v2, v1, v16
	v_add_f32_e32 v1, v221, v13
	v_sub_f32_e32 v13, v13, v15
	v_fma_f32 v7, -0.5, v7, v221
	v_fma_f32 v8, -0.5, v8, v222
	v_dual_mov_b32 v24, v14 :: v_dual_add_f32 v1, v1, v15
	v_add_nc_u32_e32 v15, 0x5b00, v14
	scratch_store_b32 off, v10, off offset:612 ; 4-byte Folded Spill
	v_fmamk_f32 v9, v12, 0x3f5db3d7, v7
	v_fmamk_f32 v10, v13, 0xbf5db3d7, v8
	s_clause 0x3
	scratch_store_b32 off, v40, off offset:640
	scratch_store_b32 off, v24, off offset:644
	;; [unrolled: 1-line block ×4, first 2 shown]
	ds_store_2addr_b64 v15, v[1:2], v[9:10] offset0:4 offset1:247
	v_dual_add_f32 v1, v20, v17 :: v_dual_add_f32 v2, v223, v20
	v_dual_add_f32 v9, v224, v21 :: v_dual_sub_f32 v14, v21, v18
	v_sub_f32_e32 v15, v20, v17
	s_delay_alu instid0(VALU_DEP_3) | instskip(NEXT) | instid1(VALU_DEP_3)
	v_fma_f32 v223, -0.5, v1, v223
	v_dual_add_f32 v1, v2, v17 :: v_dual_add_f32 v2, v9, v18
	v_dual_add_f32 v9, v21, v18 :: v_dual_fmac_f32 v8, 0x3f5db3d7, v13
	v_sub_f32_e32 v13, v23, v31
	s_delay_alu instid0(VALU_DEP_2) | instskip(SKIP_1) | instid1(VALU_DEP_2)
	v_dual_fmac_f32 v7, 0xbf5db3d7, v12 :: v_dual_fmac_f32 v224, -0.5, v9
	v_and_b32_e32 v9, 0xffff, v26
	v_fmamk_f32 v10, v15, 0xbf5db3d7, v224
	s_delay_alu instid0(VALU_DEP_2) | instskip(SKIP_2) | instid1(VALU_DEP_3)
	v_dual_fmamk_f32 v9, v14, 0x3f5db3d7, v223 :: v_dual_lshlrev_b32 v16, 3, v9
	v_fmac_f32_e32 v223, 0xbf5db3d7, v14
	v_fmac_f32_e32 v224, 0x3f5db3d7, v15
	v_dual_sub_f32 v14, v22, v30 :: v_dual_add_nc_u32 v17, 0x71c0, v16
	s_clause 0x1
	scratch_store_b32 off, v17, off offset:620
	scratch_store_b32 off, v16, off offset:628
	ds_store_2addr_b64 v17, v[1:2], v[9:10] offset0:5 offset1:248
	v_dual_add_f32 v10, v23, v31 :: v_dual_add_f32 v9, v22, v30
	v_dual_add_f32 v1, v188, v22 :: v_dual_add_f32 v2, v189, v23
	v_lshlrev_b32_e32 v15, 3, v11
	s_delay_alu instid0(VALU_DEP_3) | instskip(NEXT) | instid1(VALU_DEP_4)
	v_fma_f32 v10, -0.5, v10, v189
	v_fma_f32 v9, -0.5, v9, v188
	ds_store_b64 v41, v[200:201] offset:21384
	ds_store_b64 v16, v[223:224] offset:33048
	v_dual_add_f32 v1, v1, v30 :: v_dual_add_f32 v2, v2, v31
	v_fmamk_f32 v11, v13, 0x3f5db3d7, v9
	v_fmamk_f32 v12, v14, 0xbf5db3d7, v10
	v_dual_mov_b32 v17, v15 :: v_dual_add_nc_u32 v16, 0x8880, v15
	v_sub_f32_e32 v15, v35, v33
	v_fmac_f32_e32 v9, 0xbf5db3d7, v13
	v_fmac_f32_e32 v10, 0x3f5db3d7, v14
	ds_store_2addr_b64 v16, v[1:2], v[11:12] offset0:6 offset1:249
	v_add_f32_e32 v1, v34, v32
	v_dual_add_f32 v2, v190, v34 :: v_dual_add_f32 v11, v191, v35
	s_clause 0x1
	scratch_store_b32 off, v16, off offset:632
	scratch_store_b32 off, v17, off offset:648
	v_fma_f32 v190, -0.5, v1, v190
	v_dual_add_f32 v1, v2, v32 :: v_dual_add_f32 v2, v11, v33
	v_dual_add_f32 v11, v35, v33 :: v_dual_sub_f32 v16, v34, v32
	v_add_co_u32 v223, s2, s10, v137
	s_delay_alu instid0(VALU_DEP_1) | instskip(NEXT) | instid1(VALU_DEP_3)
	v_add_co_ci_u32_e64 v221, null, s11, 0, s2
	v_fmac_f32_e32 v191, -0.5, v11
	v_and_b32_e32 v11, 0xffff, v28
	s_delay_alu instid0(VALU_DEP_2) | instskip(NEXT) | instid1(VALU_DEP_2)
	v_fmamk_f32 v12, v16, 0xbf5db3d7, v191
	v_dual_fmamk_f32 v11, v15, 0x3f5db3d7, v190 :: v_dual_lshlrev_b32 v18, 3, v11
	v_fmac_f32_e32 v190, 0xbf5db3d7, v15
	v_fmac_f32_e32 v191, 0x3f5db3d7, v16
	s_delay_alu instid0(VALU_DEP_3)
	v_add_nc_u32_e32 v19, 0x9f40, v18
	s_clause 0x1
	scratch_store_b32 off, v19, off offset:636
	scratch_store_b32 off, v18, off offset:652
	ds_store_2addr_b64 v19, v[1:2], v[11:12] offset0:7 offset1:250
	v_dual_mul_f32 v1, v6, v187 :: v_dual_add_f32 v2, v132, v36
	s_delay_alu instid0(VALU_DEP_1) | instskip(SKIP_1) | instid1(VALU_DEP_2)
	v_fma_f32 v11, v5, v186, -v1
	v_mul_f32_e32 v5, v5, v187
	v_add_f32_e32 v1, v36, v11
	s_delay_alu instid0(VALU_DEP_2) | instskip(NEXT) | instid1(VALU_DEP_2)
	v_dual_fmac_f32 v5, v6, v186 :: v_dual_add_f32 v6, v133, v37
	v_fma_f32 v132, -0.5, v1, v132
	v_add_f32_e32 v1, v2, v11
	s_delay_alu instid0(VALU_DEP_3)
	v_add_f32_e32 v2, v6, v5
	v_add_f32_e32 v6, v37, v5
	v_sub_f32_e32 v12, v37, v5
	v_and_b32_e32 v5, 0xffff, v29
	v_sub_f32_e32 v11, v36, v11
	v_mov_b32_e32 v37, v218
	v_fmac_f32_e32 v133, -0.5, v6
	s_delay_alu instid0(VALU_DEP_4) | instskip(SKIP_2) | instid1(VALU_DEP_4)
	v_lshlrev_b32_e32 v19, 3, v5
	v_fmamk_f32 v5, v12, 0x3f5db3d7, v132
	v_fmac_f32_e32 v132, 0xbf5db3d7, v12
	v_fmamk_f32 v6, v11, 0xbf5db3d7, v133
	v_fmac_f32_e32 v133, 0x3f5db3d7, v11
	v_add_nc_u32_e32 v20, 0xb600, v19
	s_clause 0x1
	scratch_store_b32 off, v19, off offset:656
	scratch_store_b32 off, v20, off offset:660
	ds_store_2addr_b64 v20, v[1:2], v[5:6] offset0:8 offset1:251
	ds_store_b64 v18, v[190:191] offset:44712
	ds_store_b64 v19, v[132:133] offset:50544
	;; [unrolled: 1-line block ×5, first 2 shown]
	v_lshlrev_b32_e32 v3, 4, v136
	v_add_co_u32 v1, vcc_lo, 0x1000, v223
	v_add_co_ci_u32_e32 v2, vcc_lo, 0, v221, vcc_lo
	s_delay_alu instid0(VALU_DEP_3) | instskip(NEXT) | instid1(VALU_DEP_1)
	v_add_co_u32 v205, s2, s10, v3
	v_add_co_ci_u32_e64 v222, null, s11, 0, s2
	s_waitcnt lgkmcnt(0)
	s_waitcnt_vscnt null, 0x0
	s_delay_alu instid0(VALU_DEP_2) | instskip(NEXT) | instid1(VALU_DEP_2)
	v_add_co_u32 v3, vcc_lo, 0x1000, v205
	v_add_co_ci_u32_e32 v4, vcc_lo, 0, v222, vcc_lo
	s_barrier
	buffer_gl0_inv
	s_clause 0x1
	global_load_b128 v[132:135], v[1:2], off offset:1712
	global_load_b128 v[136:139], v[3:4], off offset:1712
	ds_load_2addr_b64 v[160:163], v75 offset0:6 offset1:249
	v_lshlrev_b32_e32 v3, 4, v234
	ds_load_2addr_b64 v[188:191], v236 offset0:6 offset1:249
	s_waitcnt vmcnt(1) lgkmcnt(1)
	v_mul_f32_e32 v1, v161, v135
	v_mul_f32_e32 v6, v160, v135
	s_waitcnt vmcnt(0) lgkmcnt(0)
	v_dual_mul_f32 v26, v162, v139 :: v_dual_mul_f32 v7, v189, v137
	v_mul_f32_e32 v28, v188, v137
	v_fma_f32 v5, v160, v134, -v1
	v_dual_mul_f32 v1, v163, v139 :: v_dual_fmac_f32 v6, v161, v134
	s_delay_alu instid0(VALU_DEP_4) | instskip(SKIP_2) | instid1(VALU_DEP_4)
	v_fmac_f32_e32 v26, v163, v138
	v_fma_f32 v27, v188, v136, -v7
	v_fmac_f32_e32 v28, v189, v136
	v_fma_f32 v25, v162, v138, -v1
	v_mul_u32_u24_e32 v1, 0x6799, v235
	s_delay_alu instid0(VALU_DEP_1) | instskip(NEXT) | instid1(VALU_DEP_1)
	v_lshrrev_b32_e32 v1, 16, v1
	v_sub_nc_u16 v2, v212, v1
	s_delay_alu instid0(VALU_DEP_1) | instskip(NEXT) | instid1(VALU_DEP_1)
	v_lshrrev_b16 v2, 1, v2
	v_add_nc_u16 v1, v2, v1
	s_delay_alu instid0(VALU_DEP_1) | instskip(NEXT) | instid1(VALU_DEP_1)
	v_lshrrev_b16 v1, 9, v1
	v_mul_lo_u16 v1, 0x2d9, v1
	s_delay_alu instid0(VALU_DEP_1) | instskip(NEXT) | instid1(VALU_DEP_1)
	v_sub_nc_u16 v200, v212, v1
	v_lshlrev_b16 v1, 4, v200
	s_delay_alu instid0(VALU_DEP_1) | instskip(NEXT) | instid1(VALU_DEP_1)
	v_and_b32_e32 v1, 0xffff, v1
	v_add_co_u32 v1, s2, s10, v1
	s_delay_alu instid0(VALU_DEP_1) | instskip(SKIP_1) | instid1(VALU_DEP_3)
	v_add_co_ci_u32_e64 v2, null, s11, 0, s2
	v_add_co_u32 v219, s2, s10, v3
	v_add_co_u32 v1, vcc_lo, 0x1000, v1
	v_add_co_ci_u32_e64 v16, null, s11, 0, s2
	s_delay_alu instid0(VALU_DEP_4) | instskip(NEXT) | instid1(VALU_DEP_4)
	v_add_co_ci_u32_e32 v2, vcc_lo, 0, v2, vcc_lo
	v_add_co_u32 v3, vcc_lo, 0x1000, v219
	s_delay_alu instid0(VALU_DEP_3)
	v_add_co_ci_u32_e32 v4, vcc_lo, 0, v16, vcc_lo
	s_clause 0x1
	global_load_b128 v[160:163], v[3:4], off offset:1712
	global_load_b128 v[192:195], v[1:2], off offset:1712
	ds_load_2addr_b64 v[201:204], v64 offset1:243
	s_waitcnt vmcnt(1)
	v_mul_f32_e32 v1, v191, v161
	v_mul_f32_e32 v30, v190, v161
	s_delay_alu instid0(VALU_DEP_2) | instskip(NEXT) | instid1(VALU_DEP_2)
	v_fma_f32 v29, v190, v160, -v1
	v_fmac_f32_e32 v30, v191, v160
	ds_load_2addr_b64 v[188:191], v65 offset0:12 offset1:255
	s_waitcnt lgkmcnt(0)
	v_mul_f32_e32 v1, v189, v163
	v_mul_f32_e32 v32, v188, v163
	;; [unrolled: 1-line block ×3, first 2 shown]
	s_delay_alu instid0(VALU_DEP_3) | instskip(NEXT) | instid1(VALU_DEP_3)
	v_fma_f32 v31, v188, v162, -v1
	v_dual_mul_f32 v1, v191, v135 :: v_dual_fmac_f32 v32, v189, v162
	s_delay_alu instid0(VALU_DEP_3) | instskip(NEXT) | instid1(VALU_DEP_2)
	v_fmac_f32_e32 v34, v191, v134
	v_fma_f32 v33, v190, v134, -v1
	v_sub_nc_u16 v1, v213, v0
	ds_load_2addr_b64 v[188:191], v59 offset0:8 offset1:251
	v_lshrrev_b16 v1, 1, v1
	s_delay_alu instid0(VALU_DEP_1) | instskip(SKIP_1) | instid1(VALU_DEP_2)
	v_add_nc_u16 v0, v1, v0
	v_mul_u32_u24_e32 v1, 0x6799, v233
	v_lshrrev_b16 v0, 9, v0
	s_delay_alu instid0(VALU_DEP_2) | instskip(NEXT) | instid1(VALU_DEP_2)
	v_lshrrev_b32_e32 v1, 16, v1
	v_mul_lo_u16 v0, 0x2d9, v0
	s_delay_alu instid0(VALU_DEP_2)
	v_sub_nc_u16 v2, v56, v1
	s_waitcnt lgkmcnt(0)
	v_mul_f32_e32 v4, v190, v133
	v_mul_f32_e32 v3, v191, v133
	v_sub_nc_u16 v35, v213, v0
	v_lshrrev_b16 v2, 1, v2
	s_delay_alu instid0(VALU_DEP_4) | instskip(NEXT) | instid1(VALU_DEP_4)
	v_fmac_f32_e32 v4, v191, v132
	v_fma_f32 v3, v190, v132, -v3
	s_delay_alu instid0(VALU_DEP_4) | instskip(NEXT) | instid1(VALU_DEP_4)
	v_lshlrev_b16 v0, 4, v35
	v_add_nc_u16 v2, v2, v1
	s_delay_alu instid0(VALU_DEP_4) | instskip(SKIP_1) | instid1(VALU_DEP_4)
	v_dual_add_f32 v7, v202, v4 :: v_dual_sub_f32 v8, v4, v6
	v_add_f32_e32 v4, v4, v6
	v_and_b32_e32 v0, 0xffff, v0
	s_delay_alu instid0(VALU_DEP_4) | instskip(NEXT) | instid1(VALU_DEP_4)
	v_lshrrev_b16 v2, 9, v2
	v_add_f32_e32 v18, v7, v6
	v_add_f32_e32 v6, v201, v3
	v_fma_f32 v20, -0.5, v4, v202
	v_add_co_u32 v0, s2, s10, v0
	v_mul_lo_u16 v2, 0x2d9, v2
	v_add_co_ci_u32_e64 v1, null, s11, 0, s2
	s_delay_alu instid0(VALU_DEP_3) | instskip(NEXT) | instid1(VALU_DEP_3)
	v_add_co_u32 v0, vcc_lo, 0x1000, v0
	v_sub_nc_u16 v36, v56, v2
	v_add_f32_e32 v17, v6, v5
	v_add_f32_e32 v6, v3, v5
	v_sub_f32_e32 v5, v3, v5
	v_add_co_ci_u32_e32 v1, vcc_lo, 0, v1, vcc_lo
	v_lshlrev_b16 v2, 4, v36
	s_delay_alu instid0(VALU_DEP_4) | instskip(NEXT) | instid1(VALU_DEP_4)
	v_fma_f32 v19, -0.5, v6, v201
	v_fmamk_f32 v22, v5, 0xbf5db3d7, v20
	v_fmac_f32_e32 v20, 0x3f5db3d7, v5
	s_delay_alu instid0(VALU_DEP_4) | instskip(NEXT) | instid1(VALU_DEP_4)
	v_and_b32_e32 v2, 0xffff, v2
	v_fmamk_f32 v21, v8, 0x3f5db3d7, v19
	v_fmac_f32_e32 v19, 0xbf5db3d7, v8
	s_delay_alu instid0(VALU_DEP_3) | instskip(NEXT) | instid1(VALU_DEP_1)
	v_add_co_u32 v2, s2, s10, v2
	v_add_co_ci_u32_e64 v3, null, s11, 0, s2
	s_delay_alu instid0(VALU_DEP_2) | instskip(NEXT) | instid1(VALU_DEP_2)
	v_add_co_u32 v2, vcc_lo, 0x1000, v2
	v_add_co_ci_u32_e32 v3, vcc_lo, 0, v3, vcc_lo
	s_clause 0x1
	global_load_b128 v[224:227], v[0:1], off offset:1712
	global_load_b128 v[228:231], v[2:3], off offset:1712
	ds_load_b64 v[23:24], v64 offset:50544
	ds_load_2addr_b64 v[214:217], v49 offset0:6 offset1:249
	ds_load_2addr_b64 v[232:235], v51 offset0:4 offset1:247
	;; [unrolled: 1-line block ×7, first 2 shown]
	ds_load_2addr_b64 v[207:210], v50 offset1:243
	s_waitcnt vmcnt(0) lgkmcnt(0)
	s_barrier
	buffer_gl0_inv
	ds_store_b64 v64, v[21:22] offset:5832
	ds_store_b64 v64, v[19:20] offset:11664
	v_dual_add_f32 v19, v203, v27 :: v_dual_add_f32 v20, v204, v28
	v_mov_b32_e32 v218, v50
	v_dual_mov_b32 v50, v37 :: v_dual_mov_b32 v51, v220
	s_delay_alu instid0(VALU_DEP_3) | instskip(NEXT) | instid1(VALU_DEP_2)
	v_dual_add_f32 v19, v19, v25 :: v_dual_add_f32 v20, v20, v26
	v_mov_b32_e32 v58, v50
	ds_store_2addr_b64 v64, v[17:18], v[19:20] offset1:243
	v_add_f32_e32 v17, v28, v26
	v_dual_add_f32 v19, v27, v25 :: v_dual_sub_f32 v18, v28, v26
	v_add_f32_e32 v20, v215, v30
	v_sub_f32_e32 v26, v29, v31
	s_delay_alu instid0(VALU_DEP_4) | instskip(NEXT) | instid1(VALU_DEP_4)
	v_fmac_f32_e32 v204, -0.5, v17
	v_fma_f32 v203, -0.5, v19, v203
	s_delay_alu instid0(VALU_DEP_4) | instskip(SKIP_1) | instid1(VALU_DEP_3)
	v_dual_sub_f32 v19, v27, v25 :: v_dual_add_f32 v20, v20, v32
	v_dual_sub_f32 v25, v30, v32 :: v_dual_mul_f32 v28, v7, v163
	v_fmamk_f32 v17, v18, 0x3f5db3d7, v203
	s_delay_alu instid0(VALU_DEP_3) | instskip(SKIP_1) | instid1(VALU_DEP_4)
	v_dual_fmac_f32 v203, 0xbf5db3d7, v18 :: v_dual_fmamk_f32 v18, v19, 0xbf5db3d7, v204
	v_dual_fmac_f32 v204, 0x3f5db3d7, v19 :: v_dual_add_f32 v19, v214, v29
	v_fma_f32 v28, v6, v162, -v28
	v_mul_f32_e32 v38, v4, v139
	v_mul_f32_e32 v40, v196, v195
	s_delay_alu instid0(VALU_DEP_4)
	v_add_f32_e32 v19, v19, v31
	ds_store_b64 v64, v[203:204] offset:13608
	ds_store_b64 v64, v[19:20] offset:3888
	v_dual_add_f32 v20, v30, v32 :: v_dual_add_f32 v19, v29, v31
	v_mul_f32_e32 v32, v234, v137
	v_fmac_f32_e32 v38, v5, v138
	v_fmac_f32_e32 v40, v197, v194
	s_delay_alu instid0(VALU_DEP_4) | instskip(SKIP_2) | instid1(VALU_DEP_3)
	v_fma_f32 v20, -0.5, v20, v215
	v_fma_f32 v19, -0.5, v19, v214
	v_fmac_f32_e32 v32, v235, v136
	v_fmamk_f32 v22, v26, 0xbf5db3d7, v20
	s_delay_alu instid0(VALU_DEP_3) | instskip(SKIP_4) | instid1(VALU_DEP_1)
	v_fmamk_f32 v21, v25, 0x3f5db3d7, v19
	v_fmac_f32_e32 v19, 0xbf5db3d7, v25
	v_fmac_f32_e32 v20, 0x3f5db3d7, v26
	ds_store_2addr_b64 v37, v[17:18], v[21:22] offset0:12 offset1:255
	v_mul_f32_e32 v17, v233, v133
	v_fma_f32 v17, v232, v132, -v17
	s_delay_alu instid0(VALU_DEP_1) | instskip(SKIP_1) | instid1(VALU_DEP_2)
	v_add_f32_e32 v18, v17, v33
	v_add_f32_e32 v21, v216, v17
	v_fma_f32 v216, -0.5, v18, v216
	v_mul_f32_e32 v18, v232, v133
	s_delay_alu instid0(VALU_DEP_1) | instskip(NEXT) | instid1(VALU_DEP_1)
	v_fmac_f32_e32 v18, v233, v132
	v_add_f32_e32 v22, v18, v34
	v_add_f32_e32 v27, v217, v18
	s_delay_alu instid0(VALU_DEP_2) | instskip(NEXT) | instid1(VALU_DEP_1)
	v_dual_fmac_f32 v217, -0.5, v22 :: v_dual_mul_f32 v22, v9, v161
	v_fma_f32 v22, v8, v160, -v22
	s_delay_alu instid0(VALU_DEP_1) | instskip(SKIP_1) | instid1(VALU_DEP_2)
	v_dual_mul_f32 v8, v8, v161 :: v_dual_add_f32 v29, v22, v28
	v_add_f32_e32 v30, v2, v22
	v_fmac_f32_e32 v8, v9, v160
	v_sub_f32_e32 v9, v17, v33
	s_delay_alu instid0(VALU_DEP_4) | instskip(SKIP_1) | instid1(VALU_DEP_4)
	v_fma_f32 v2, -0.5, v29, v2
	v_mul_f32_e32 v29, v6, v163
	v_add_f32_e32 v31, v3, v8
	s_delay_alu instid0(VALU_DEP_2) | instskip(SKIP_2) | instid1(VALU_DEP_3)
	v_fmac_f32_e32 v29, v7, v162
	v_sub_f32_e32 v7, v18, v34
	v_sub_f32_e32 v18, v22, v28
	v_add_f32_e32 v6, v8, v29
	v_sub_f32_e32 v17, v8, v29
	s_delay_alu instid0(VALU_DEP_2) | instskip(SKIP_1) | instid1(VALU_DEP_3)
	v_dual_fmac_f32 v3, -0.5, v6 :: v_dual_fmamk_f32 v6, v7, 0x3f5db3d7, v216
	v_dual_fmac_f32 v216, 0xbf5db3d7, v7 :: v_dual_fmamk_f32 v7, v9, 0xbf5db3d7, v217
	v_dual_fmac_f32 v217, 0x3f5db3d7, v9 :: v_dual_fmamk_f32 v8, v17, 0x3f5db3d7, v2
	s_delay_alu instid0(VALU_DEP_3) | instskip(SKIP_3) | instid1(VALU_DEP_1)
	v_dual_fmamk_f32 v9, v18, 0xbf5db3d7, v3 :: v_dual_fmac_f32 v2, 0xbf5db3d7, v17
	v_fmac_f32_e32 v3, 0x3f5db3d7, v18
	ds_store_2addr_b64 v220, v[8:9], v[216:217] offset0:10 offset1:253
	v_dual_mul_f32 v8, v235, v137 :: v_dual_sub_f32 v9, v32, v38
	v_fma_f32 v22, v234, v136, -v8
	v_dual_mul_f32 v8, v5, v139 :: v_dual_add_f32 v5, v32, v38
	s_delay_alu instid0(VALU_DEP_1) | instskip(SKIP_1) | instid1(VALU_DEP_3)
	v_fma_f32 v37, v4, v138, -v8
	v_mul_f32_e32 v4, v11, v193
	v_fma_f32 v5, -0.5, v5, v1
	s_delay_alu instid0(VALU_DEP_3) | instskip(NEXT) | instid1(VALU_DEP_3)
	v_sub_f32_e32 v47, v22, v37
	v_fma_f32 v39, v10, v192, -v4
	v_mul_f32_e32 v10, v10, v193
	v_mul_f32_e32 v4, v197, v195
	s_delay_alu instid0(VALU_DEP_2) | instskip(NEXT) | instid1(VALU_DEP_2)
	v_fmac_f32_e32 v10, v11, v192
	v_fma_f32 v11, v196, v194, -v4
	v_mul_f32_e32 v4, v199, v227
	v_mul_f32_e32 v44, v207, v225
	;; [unrolled: 1-line block ×4, first 2 shown]
	s_delay_alu instid0(VALU_DEP_4) | instskip(SKIP_4) | instid1(VALU_DEP_4)
	v_fma_f32 v41, v198, v226, -v4
	v_mul_f32_e32 v4, v208, v225
	v_fmac_f32_e32 v44, v208, v224
	v_fmac_f32_e32 v42, v199, v226
	;; [unrolled: 1-line block ×3, first 2 shown]
	v_fma_f32 v43, v207, v224, -v4
	v_mul_f32_e32 v4, v210, v229
	s_delay_alu instid0(VALU_DEP_1) | instskip(SKIP_1) | instid1(VALU_DEP_1)
	v_fma_f32 v45, v209, v228, -v4
	v_add_f32_e32 v4, v22, v37
	v_fma_f32 v4, -0.5, v4, v0
	s_delay_alu instid0(VALU_DEP_1)
	v_fmamk_f32 v8, v9, 0x3f5db3d7, v4
	v_dual_fmac_f32 v4, 0xbf5db3d7, v9 :: v_dual_fmamk_f32 v9, v47, 0xbf5db3d7, v5
	v_fmac_f32_e32 v5, 0x3f5db3d7, v47
	ds_store_2addr_b64 v52, v[6:7], v[8:9] offset0:4 offset1:247
	ds_store_2addr_b64 v218, v[4:5], v[2:3] offset1:243
	v_dual_add_f32 v2, v0, v22 :: v_dual_add_f32 v3, v1, v32
	v_dual_add_f32 v0, v21, v33 :: v_dual_add_f32 v1, v27, v34
	v_dual_sub_f32 v9, v39, v11 :: v_dual_and_b32 v4, 0xffff, v200
	v_dual_sub_f32 v8, v10, v40 :: v_dual_mul_f32 v7, v23, v231
	ds_store_2addr_b64 v59, v[19:20], v[0:1] offset0:8 offset1:251
	v_dual_add_f32 v0, v2, v37 :: v_dual_add_f32 v1, v3, v38
	v_dual_add_f32 v2, v30, v28 :: v_dual_add_f32 v3, v31, v29
	v_fmac_f32_e32 v7, v24, v230
	ds_store_2addr_b64 v236, v[0:1], v[2:3] offset0:6 offset1:249
	v_add_f32_e32 v2, v13, v10
	v_dual_mul_f32 v0, v24, v231 :: v_dual_add_f32 v1, v10, v40
	s_delay_alu instid0(VALU_DEP_2) | instskip(SKIP_1) | instid1(VALU_DEP_3)
	v_dual_add_f32 v3, v2, v40 :: v_dual_and_b32 v10, 0xffff, v35
	v_add_f32_e32 v2, v12, v39
	v_fma_f32 v6, v23, v230, -v0
	v_add_f32_e32 v0, v39, v11
	v_fma_f32 v1, -0.5, v1, v13
	v_lshlrev_b32_e32 v10, 3, v10
	v_dual_add_f32 v2, v2, v11 :: v_dual_lshlrev_b32 v11, 3, v4
	s_delay_alu instid0(VALU_DEP_4) | instskip(NEXT) | instid1(VALU_DEP_4)
	v_fma_f32 v0, -0.5, v0, v12
	v_fmamk_f32 v5, v9, 0xbf5db3d7, v1
	v_fmac_f32_e32 v1, 0x3f5db3d7, v9
	ds_store_b64 v11, v[2:3] offset:34992
	v_dual_add_f32 v2, v14, v43 :: v_dual_add_f32 v3, v15, v44
	v_fmamk_f32 v4, v8, 0x3f5db3d7, v0
	v_fmac_f32_e32 v0, 0xbf5db3d7, v8
	scratch_store_b32 off, v11, off offset:668 ; 4-byte Folded Spill
	v_dual_add_f32 v2, v2, v41 :: v_dual_add_f32 v3, v3, v42
	ds_store_b64 v10, v[2:3] offset:34992
	ds_store_b64 v11, v[0:1] offset:46656
	;; [unrolled: 1-line block ×3, first 2 shown]
	v_add_f32_e32 v0, v43, v41
	v_dual_sub_f32 v1, v44, v42 :: v_dual_and_b32 v4, 0xffff, v36
	v_dual_sub_f32 v2, v43, v41 :: v_dual_add_f32 v3, v189, v46
	s_delay_alu instid0(VALU_DEP_3) | instskip(SKIP_1) | instid1(VALU_DEP_4)
	v_fma_f32 v14, -0.5, v0, v14
	v_add_f32_e32 v0, v44, v42
	v_lshlrev_b32_e32 v8, 3, v4
	v_dual_add_f32 v4, v45, v6 :: v_dual_sub_f32 v5, v46, v7
	v_add_f32_e32 v3, v3, v7
	s_delay_alu instid0(VALU_DEP_4)
	v_dual_fmac_f32 v15, -0.5, v0 :: v_dual_fmamk_f32 v0, v1, 0x3f5db3d7, v14
	v_fmac_f32_e32 v14, 0xbf5db3d7, v1
	s_clause 0x1
	scratch_store_b32 off, v8, off offset:664
	scratch_store_b32 off, v10, off offset:672
	v_fmamk_f32 v1, v2, 0xbf5db3d7, v15
	v_dual_fmac_f32 v15, 0x3f5db3d7, v2 :: v_dual_add_f32 v2, v188, v45
	v_fma_f32 v188, -0.5, v4, v188
	v_add_f32_e32 v4, v46, v7
	ds_store_b64 v10, v[14:15] offset:46656
	v_add_f32_e32 v2, v2, v6
	v_dual_sub_f32 v6, v45, v6 :: v_dual_fmac_f32 v189, -0.5, v4
	v_fmamk_f32 v4, v5, 0x3f5db3d7, v188
	s_delay_alu instid0(VALU_DEP_2)
	v_dual_fmac_f32 v188, 0xbf5db3d7, v5 :: v_dual_fmamk_f32 v5, v6, 0xbf5db3d7, v189
	v_fmac_f32_e32 v189, 0x3f5db3d7, v6
	ds_store_b64 v8, v[188:189] offset:46656
	ds_store_b64 v10, v[0:1] offset:40824
	ds_store_b64 v8, v[2:3] offset:34992
	ds_store_b64 v8, v[4:5] offset:40824
	v_add_co_u32 v0, vcc_lo, 0x4000, v223
	v_add_co_ci_u32_e32 v1, vcc_lo, 0, v221, vcc_lo
	v_add_co_u32 v2, vcc_lo, 0x4000, v205
	v_add_co_ci_u32_e32 v3, vcc_lo, 0, v222, vcc_lo
	s_waitcnt lgkmcnt(0)
	s_waitcnt_vscnt null, 0x0
	s_barrier
	buffer_gl0_inv
	s_clause 0x1
	global_load_b128 v[200:203], v[0:1], off offset:1088
	global_load_b128 v[196:199], v[2:3], off offset:1088
	ds_load_2addr_b64 v[0:3], v75 offset0:6 offset1:249
	s_waitcnt vmcnt(1) lgkmcnt(0)
	v_mul_f32_e32 v4, v1, v203
	v_mul_f32_e32 v9, v0, v203
	s_waitcnt vmcnt(0)
	v_mul_f32_e32 v39, v2, v199
	s_delay_alu instid0(VALU_DEP_3) | instskip(NEXT) | instid1(VALU_DEP_3)
	v_fma_f32 v8, v0, v202, -v4
	v_dual_mul_f32 v0, v3, v199 :: v_dual_fmac_f32 v9, v1, v202
	v_add_co_u32 v4, vcc_lo, 0x4000, v219
	v_add_co_ci_u32_e32 v5, vcc_lo, 0, v16, vcc_lo
	s_delay_alu instid0(VALU_DEP_3) | instskip(SKIP_2) | instid1(VALU_DEP_2)
	v_fma_f32 v38, v2, v198, -v0
	v_lshlrev_b32_e32 v0, 4, v206
	v_fmac_f32_e32 v39, v3, v198
	v_add_co_u32 v0, s2, s10, v0
	s_delay_alu instid0(VALU_DEP_1) | instskip(NEXT) | instid1(VALU_DEP_2)
	v_add_co_ci_u32_e64 v1, null, s11, 0, s2
	v_add_co_u32 v6, vcc_lo, 0x4000, v0
	s_delay_alu instid0(VALU_DEP_2)
	v_add_co_ci_u32_e32 v7, vcc_lo, 0, v1, vcc_lo
	ds_load_2addr_b64 v[0:3], v236 offset0:6 offset1:249
	s_clause 0x1
	global_load_b128 v[232:235], v[4:5], off offset:1088
	global_load_b128 v[188:191], v[6:7], off offset:1088
	ds_load_2addr_b64 v[26:29], v59 offset0:8 offset1:251
	s_waitcnt lgkmcnt(1)
	v_dual_mul_f32 v10, v1, v197 :: v_dual_add_nc_u32 v59, 0xbd80, v64
	v_mul_f32_e32 v41, v0, v197
	s_delay_alu instid0(VALU_DEP_2) | instskip(NEXT) | instid1(VALU_DEP_2)
	v_fma_f32 v40, v0, v196, -v10
	v_fmac_f32_e32 v41, v1, v196
	s_waitcnt lgkmcnt(0)
	v_mul_f32_e32 v1, v28, v201
	s_delay_alu instid0(VALU_DEP_1) | instskip(NEXT) | instid1(VALU_DEP_1)
	v_fmac_f32_e32 v1, v29, v200
	v_sub_f32_e32 v7, v1, v9
	s_waitcnt vmcnt(1)
	v_mul_f32_e32 v0, v3, v233
	v_mul_f32_e32 v43, v2, v233
	s_delay_alu instid0(VALU_DEP_2) | instskip(NEXT) | instid1(VALU_DEP_2)
	v_fma_f32 v42, v2, v232, -v0
	v_fmac_f32_e32 v43, v3, v232
	ds_load_2addr_b64 v[2:5], v64 offset1:243
	v_mul_f32_e32 v0, v29, v201
	s_delay_alu instid0(VALU_DEP_1) | instskip(SKIP_3) | instid1(VALU_DEP_2)
	v_fma_f32 v0, v28, v200, -v0
	s_waitcnt lgkmcnt(0)
	v_add_f32_e32 v6, v3, v1
	v_add_f32_e32 v1, v1, v9
	;; [unrolled: 1-line block ×4, first 2 shown]
	s_delay_alu instid0(VALU_DEP_3) | instskip(NEXT) | instid1(VALU_DEP_2)
	v_fma_f32 v1, -0.5, v1, v3
	v_add_f32_e32 v32, v6, v8
	v_add_f32_e32 v6, v0, v8
	v_sub_f32_e32 v8, v0, v8
	s_delay_alu instid0(VALU_DEP_2) | instskip(NEXT) | instid1(VALU_DEP_2)
	v_fma_f32 v0, -0.5, v6, v2
	v_fmamk_f32 v3, v8, 0xbf5db3d7, v1
	s_delay_alu instid0(VALU_DEP_2)
	v_dual_fmac_f32 v1, 0x3f5db3d7, v8 :: v_dual_fmamk_f32 v2, v7, 0x3f5db3d7, v0
	v_fmac_f32_e32 v0, 0xbf5db3d7, v7
	ds_store_b64 v64, v[2:3] offset:17496
	ds_store_b64 v64, v[0:1] offset:34992
	ds_load_b64 v[36:37], v64 offset:50544
	ds_load_2addr_b64 v[6:9], v65 offset0:12 offset1:255
	ds_load_2addr_b64 v[10:13], v49 offset0:6 offset1:249
	v_dual_add_f32 v0, v4, v40 :: v_dual_add_f32 v1, v5, v41
	ds_load_2addr_b64 v[214:217], v52 offset0:4 offset1:247
	v_dual_mov_b32 v47, v218 :: v_dual_add_f32 v34, v0, v38
	v_add_f32_e32 v35, v1, v39
	ds_load_2addr_b64 v[0:3], v50 offset0:12 offset1:255
	ds_load_2addr_b64 v[218:221], v69 offset0:2 offset1:245
	;; [unrolled: 1-line block ×5, first 2 shown]
	ds_load_2addr_b64 v[28:31], v47 offset1:243
	ds_store_2addr_b64 v64, v[32:33], v[34:35] offset1:243
	v_add_f32_e32 v32, v41, v39
	v_dual_sub_f32 v33, v41, v39 :: v_dual_add_f32 v34, v40, v38
	v_sub_f32_e32 v35, v40, v38
	s_waitcnt lgkmcnt(9)
	s_delay_alu instid0(VALU_DEP_3)
	v_dual_fmac_f32 v5, -0.5, v32 :: v_dual_mul_f32 v32, v7, v235
	v_mul_f32_e32 v39, v6, v235
	v_fma_f32 v4, -0.5, v34, v4
	s_waitcnt vmcnt(0)
	v_mul_f32_e32 v41, v8, v191
	v_fma_f32 v38, v6, v234, -v32
	s_delay_alu instid0(VALU_DEP_3) | instskip(SKIP_1) | instid1(VALU_DEP_3)
	v_dual_fmac_f32 v39, v7, v234 :: v_dual_fmamk_f32 v32, v33, 0x3f5db3d7, v4
	v_dual_fmac_f32 v4, 0xbf5db3d7, v33 :: v_dual_fmamk_f32 v33, v35, 0xbf5db3d7, v5
	v_add_f32_e32 v6, v42, v38
	v_sub_f32_e32 v40, v42, v38
	s_waitcnt lgkmcnt(8)
	v_dual_add_f32 v42, v10, v42 :: v_dual_add_f32 v7, v43, v39
	v_fmac_f32_e32 v5, 0x3f5db3d7, v35
	v_fma_f32 v6, -0.5, v6, v10
	v_sub_f32_e32 v35, v43, v39
	v_fmac_f32_e32 v41, v9, v190
	v_fma_f32 v7, -0.5, v7, v11
	v_add_f32_e32 v43, v11, v43
	s_delay_alu instid0(VALU_DEP_4) | instskip(NEXT) | instid1(VALU_DEP_3)
	v_fmamk_f32 v34, v35, 0x3f5db3d7, v6
	v_dual_fmac_f32 v6, 0xbf5db3d7, v35 :: v_dual_fmamk_f32 v35, v40, 0xbf5db3d7, v7
	v_fmac_f32_e32 v7, 0x3f5db3d7, v40
	v_add_nc_u32_e32 v40, 0x9000, v64
	v_mov_b32_e32 v254, v51
	ds_store_2addr_b64 v40, v[4:5], v[6:7] offset0:9 offset1:252
	v_dual_mul_f32 v4, v9, v191 :: v_dual_mov_b32 v91, v40
	s_waitcnt lgkmcnt(8)
	v_dual_mul_f32 v9, v214, v189 :: v_dual_lshlrev_b32 v6, 4, v211
	s_delay_alu instid0(VALU_DEP_2) | instskip(SKIP_2) | instid1(VALU_DEP_4)
	v_fma_f32 v40, v8, v190, -v4
	v_lshlrev_b32_e32 v4, 4, v68
	v_mul_f32_e32 v8, v215, v189
	v_fmac_f32_e32 v9, v215, v188
	v_add_nc_u32_e32 v68, 0xae80, v64
	s_delay_alu instid0(VALU_DEP_4) | instskip(NEXT) | instid1(VALU_DEP_1)
	v_add_co_u32 v4, s2, s10, v4
	v_add_co_ci_u32_e64 v5, null, s11, 0, s2
	v_add_co_u32 v6, s2, s10, v6
	s_delay_alu instid0(VALU_DEP_3) | instskip(SKIP_1) | instid1(VALU_DEP_4)
	v_add_co_u32 v4, vcc_lo, 0x4000, v4
	v_add_co_ci_u32_e64 v7, null, s11, 0, s2
	v_add_co_ci_u32_e32 v5, vcc_lo, 0, v5, vcc_lo
	s_delay_alu instid0(VALU_DEP_4) | instskip(NEXT) | instid1(VALU_DEP_3)
	v_add_co_u32 v6, vcc_lo, 0x4000, v6
	v_add_co_ci_u32_e32 v7, vcc_lo, 0, v7, vcc_lo
	s_clause 0x1
	global_load_b128 v[208:211], v[4:5], off offset:1088
	global_load_b128 v[204:207], v[6:7], off offset:1088
	v_lshlrev_b32_e32 v6, 4, v213
	v_fma_f32 v8, v214, v188, -v8
	s_waitcnt vmcnt(1)
	v_mul_f32_e32 v4, v217, v209
	v_dual_mov_b32 v50, v47 :: v_dual_mul_f32 v45, v216, v209
	s_waitcnt vmcnt(0) lgkmcnt(5)
	v_dual_mul_f32 v47, v218, v211 :: v_dual_mul_f32 v54, v15, v205
	s_delay_alu instid0(VALU_DEP_3) | instskip(NEXT) | instid1(VALU_DEP_3)
	v_fma_f32 v44, v216, v208, -v4
	v_dual_mul_f32 v4, v219, v211 :: v_dual_fmac_f32 v45, v217, v208
	v_mul_f32_e32 v53, v220, v207
	s_delay_alu instid0(VALU_DEP_4) | instskip(SKIP_1) | instid1(VALU_DEP_4)
	v_fma_f32 v54, v14, v204, -v54
	v_mul_f32_e32 v14, v14, v205
	v_fma_f32 v46, v218, v210, -v4
	v_mul_f32_e32 v4, v221, v207
	v_fmac_f32_e32 v53, v221, v206
	s_delay_alu instid0(VALU_DEP_4) | instskip(NEXT) | instid1(VALU_DEP_4)
	v_dual_add_f32 v55, v13, v9 :: v_dual_fmac_f32 v14, v15, v204
	v_sub_f32_e32 v66, v44, v46
	s_delay_alu instid0(VALU_DEP_4) | instskip(SKIP_1) | instid1(VALU_DEP_4)
	v_fma_f32 v52, v220, v206, -v4
	v_dual_fmac_f32 v47, v219, v210 :: v_dual_lshlrev_b32 v4, 4, v212
	v_add_f32_e32 v67, v3, v14
	v_sub_f32_e32 v11, v14, v53
	s_delay_alu instid0(VALU_DEP_3) | instskip(NEXT) | instid1(VALU_DEP_1)
	v_add_co_u32 v4, s2, s10, v4
	v_add_co_ci_u32_e64 v5, null, s11, 0, s2
	v_add_co_u32 v6, s2, s10, v6
	s_delay_alu instid0(VALU_DEP_3) | instskip(SKIP_1) | instid1(VALU_DEP_4)
	v_add_co_u32 v4, vcc_lo, 0x4000, v4
	v_add_co_ci_u32_e64 v7, null, s11, 0, s2
	v_add_co_ci_u32_e32 v5, vcc_lo, 0, v5, vcc_lo
	s_delay_alu instid0(VALU_DEP_4) | instskip(NEXT) | instid1(VALU_DEP_3)
	v_add_co_u32 v6, vcc_lo, 0x4000, v6
	v_add_co_ci_u32_e32 v7, vcc_lo, 0, v7, vcc_lo
	s_clause 0x1
	global_load_b128 v[216:219], v[4:5], off offset:1088
	global_load_b128 v[212:215], v[6:7], off offset:1088
	v_sub_f32_e32 v7, v9, v41
	s_waitcnt vmcnt(1)
	v_mul_f32_e32 v4, v17, v217
	s_waitcnt vmcnt(0) lgkmcnt(2)
	v_mul_f32_e32 v6, v29, v213
	s_delay_alu instid0(VALU_DEP_2) | instskip(SKIP_2) | instid1(VALU_DEP_2)
	v_fma_f32 v15, v16, v216, -v4
	v_mul_f32_e32 v16, v16, v217
	v_mul_f32_e32 v4, v23, v219
	v_fmac_f32_e32 v16, v17, v216
	s_delay_alu instid0(VALU_DEP_2) | instskip(SKIP_2) | instid1(VALU_DEP_2)
	v_fma_f32 v17, v22, v218, -v4
	v_mul_f32_e32 v22, v22, v219
	v_mul_f32_e32 v4, v25, v215
	v_fmac_f32_e32 v22, v23, v218
	s_delay_alu instid0(VALU_DEP_2) | instskip(SKIP_3) | instid1(VALU_DEP_3)
	v_fma_f32 v23, v24, v214, -v4
	v_lshlrev_b32_e32 v4, 4, v56
	v_mul_f32_e32 v24, v24, v215
	v_mov_b32_e32 v56, v69
	v_add_co_u32 v4, s2, s10, v4
	s_delay_alu instid0(VALU_DEP_1) | instskip(NEXT) | instid1(VALU_DEP_4)
	v_add_co_ci_u32_e64 v5, null, s11, 0, s2
	v_fmac_f32_e32 v24, v25, v214
	s_delay_alu instid0(VALU_DEP_3) | instskip(NEXT) | instid1(VALU_DEP_3)
	v_add_co_u32 v4, vcc_lo, 0x4000, v4
	v_add_co_ci_u32_e32 v5, vcc_lo, 0, v5, vcc_lo
	v_fma_f32 v25, v28, v212, -v6
	v_mul_f32_e32 v28, v28, v213
	s_mov_b32 s2, 0xab547995
	global_load_b128 v[220:223], v[4:5], off offset:1088
	v_add_f32_e32 v5, v45, v47
	s_mov_b32 s3, 0x3f23fa39
	v_fmac_f32_e32 v28, v29, v212
	s_delay_alu instid0(VALU_DEP_2) | instskip(SKIP_1) | instid1(VALU_DEP_2)
	v_fma_f32 v5, -0.5, v5, v1
	s_waitcnt vmcnt(0)
	v_dual_add_f32 v77, v21, v28 :: v_dual_mul_f32 v4, v31, v221
	s_delay_alu instid0(VALU_DEP_1) | instskip(SKIP_2) | instid1(VALU_DEP_2)
	v_fma_f32 v29, v30, v220, -v4
	v_mul_f32_e32 v30, v30, v221
	v_add_f32_e32 v4, v8, v40
	v_fmac_f32_e32 v30, v31, v220
	v_add_f32_e32 v31, v12, v8
	s_delay_alu instid0(VALU_DEP_3) | instskip(SKIP_2) | instid1(VALU_DEP_3)
	v_fma_f32 v12, -0.5, v4, v12
	v_add_f32_e32 v4, v9, v41
	v_dual_sub_f32 v8, v8, v40 :: v_dual_sub_f32 v9, v45, v47
	v_dual_add_f32 v45, v1, v45 :: v_dual_fmamk_f32 v6, v7, 0x3f5db3d7, v12
	s_delay_alu instid0(VALU_DEP_3) | instskip(SKIP_3) | instid1(VALU_DEP_4)
	v_dual_fmac_f32 v13, -0.5, v4 :: v_dual_add_f32 v4, v44, v46
	v_fmac_f32_e32 v12, 0xbf5db3d7, v7
	v_add_f32_e32 v44, v0, v44
	v_sub_f32_e32 v1, v28, v24
	v_fmamk_f32 v7, v8, 0xbf5db3d7, v13
	v_fma_f32 v4, -0.5, v4, v0
	v_dual_fmac_f32 v13, 0x3f5db3d7, v8 :: v_dual_mul_f32 v0, v37, v223
	s_delay_alu instid0(VALU_DEP_2)
	v_fmamk_f32 v8, v9, 0x3f5db3d7, v4
	v_dual_fmac_f32 v4, 0xbf5db3d7, v9 :: v_dual_fmamk_f32 v9, v66, 0xbf5db3d7, v5
	v_fmac_f32_e32 v5, 0x3f5db3d7, v66
	v_add_f32_e32 v66, v2, v54
	ds_store_2addr_b64 v48, v[6:7], v[8:9] offset0:4 offset1:247
	ds_store_2addr_b64 v255, v[12:13], v[4:5] offset0:7 offset1:250
	v_dual_add_f32 v4, v54, v52 :: v_dual_add_f32 v5, v16, v22
	v_dual_sub_f32 v12, v54, v52 :: v_dual_sub_f32 v13, v16, v22
	v_fma_f32 v54, v36, v222, -v0
	s_delay_alu instid0(VALU_DEP_3) | instskip(SKIP_4) | instid1(VALU_DEP_4)
	v_fma_f32 v2, -0.5, v4, v2
	v_add_f32_e32 v4, v14, v53
	v_fma_f32 v5, -0.5, v5, v19
	v_sub_f32_e32 v14, v15, v17
	v_mul_f32_e32 v36, v36, v223
	v_dual_add_f32 v0, v25, v23 :: v_dual_fmac_f32 v3, -0.5, v4
	v_add_f32_e32 v4, v15, v17
	v_fmamk_f32 v10, v11, 0x3f5db3d7, v2
	v_fmac_f32_e32 v2, 0xbf5db3d7, v11
	s_delay_alu instid0(VALU_DEP_4) | instskip(NEXT) | instid1(VALU_DEP_4)
	v_dual_fmac_f32 v36, v37, v222 :: v_dual_fmamk_f32 v11, v12, 0xbf5db3d7, v3
	v_fma_f32 v4, -0.5, v4, v18
	v_fmac_f32_e32 v3, 0x3f5db3d7, v12
	v_add_f32_e32 v37, v20, v25
	v_fma_f32 v20, -0.5, v0, v20
	v_add_f32_e32 v0, v28, v24
	v_fmamk_f32 v12, v13, 0x3f5db3d7, v4
	v_dual_fmac_f32 v4, 0xbf5db3d7, v13 :: v_dual_fmamk_f32 v13, v14, 0xbf5db3d7, v5
	v_fmac_f32_e32 v5, 0x3f5db3d7, v14
	s_delay_alu instid0(VALU_DEP_4)
	v_dual_fmac_f32 v21, -0.5, v0 :: v_dual_fmamk_f32 v0, v1, 0x3f5db3d7, v20
	v_fmac_f32_e32 v20, 0xbf5db3d7, v1
	v_add_f32_e32 v28, v27, v30
	ds_store_2addr_b64 v68, v[2:3], v[4:5] offset0:5 offset1:248
	v_dual_sub_f32 v2, v25, v23 :: v_dual_add_f32 v25, v26, v29
	v_dual_sub_f32 v3, v30, v36 :: v_dual_sub_f32 v4, v29, v54
	v_add_f32_e32 v18, v18, v15
	s_delay_alu instid0(VALU_DEP_3)
	v_fmamk_f32 v1, v2, 0xbf5db3d7, v21
	v_fmac_f32_e32 v21, 0x3f5db3d7, v2
	v_dual_add_f32 v2, v29, v54 :: v_dual_add_f32 v5, v43, v39
	v_add_f32_e32 v14, v31, v40
	v_add_f32_e32 v16, v19, v16
	;; [unrolled: 1-line block ×3, first 2 shown]
	s_delay_alu instid0(VALU_DEP_4)
	v_fma_f32 v26, -0.5, v2, v26
	ds_store_2addr_b64 v236, v[32:33], v[34:35] offset0:6 offset1:249
	ds_store_2addr_b64 v51, v[10:11], v[12:13] offset0:10 offset1:253
	v_fmamk_f32 v2, v3, 0x3f5db3d7, v26
	v_dual_fmac_f32 v26, 0xbf5db3d7, v3 :: v_dual_add_f32 v3, v30, v36
	v_add_f32_e32 v15, v55, v41
	s_delay_alu instid0(VALU_DEP_2) | instskip(NEXT) | instid1(VALU_DEP_1)
	v_fmac_f32_e32 v27, -0.5, v3
	v_fmamk_f32 v3, v4, 0xbf5db3d7, v27
	v_dual_fmac_f32 v27, 0x3f5db3d7, v4 :: v_dual_add_f32 v4, v42, v38
	v_dual_mov_b32 v38, v58 :: v_dual_add_f32 v7, v67, v53
	ds_store_2addr_b64 v59, v[20:21], v[26:27] offset0:11 offset1:254
	ds_store_2addr_b64 v49, v[4:5], v[14:15] offset0:6 offset1:249
	v_dual_add_f32 v4, v44, v46 :: v_dual_add_f32 v5, v45, v47
	ds_store_2addr_b64 v58, v[4:5], v[6:7] offset0:12 offset1:255
	v_dual_add_f32 v4, v18, v17 :: v_dual_add_f32 v5, v16, v22
	v_add_f32_e32 v6, v37, v23
	v_add_f32_e32 v7, v77, v24
	ds_store_2addr_b64 v57, v[4:5], v[6:7] offset0:2 offset1:245
	ds_store_2addr_b64 v50, v[0:1], v[2:3] offset1:243
	v_dual_add_f32 v0, v25, v54 :: v_dual_add_f32 v1, v28, v36
	v_mov_b32_e32 v58, v50
	v_mov_b32_e32 v50, v38
	ds_store_b64 v64, v[0:1] offset:15552
	s_waitcnt lgkmcnt(0)
	s_barrier
	buffer_gl0_inv
	scratch_load_b64 v[0:1], off, off offset:428 ; 8-byte Folded Reload
	s_waitcnt vmcnt(0)
	global_load_b64 v[4:5], v[0:1], off offset:3336
	v_add_co_u32 v0, vcc_lo, 0xcd08, v88
	v_add_co_ci_u32_e32 v1, vcc_lo, 0, v76, vcc_lo
	v_add_co_u32 v6, vcc_lo, 0x11000, v88
	v_add_co_ci_u32_e32 v7, vcc_lo, 0, v76, vcc_lo
	s_clause 0x2
	global_load_b64 v[8:9], v[0:1], off offset:1944
	global_load_b64 v[10:11], v[0:1], off offset:3888
	;; [unrolled: 1-line block ×3, first 2 shown]
	ds_load_2addr_b64 v[0:3], v64 offset1:243
	s_waitcnt vmcnt(3) lgkmcnt(0)
	v_mul_f32_e32 v14, v1, v5
	v_mul_f32_e32 v15, v0, v5
	s_delay_alu instid0(VALU_DEP_2) | instskip(SKIP_1) | instid1(VALU_DEP_2)
	v_fma_f32 v14, v0, v4, -v14
	s_waitcnt vmcnt(2)
	v_dual_fmac_f32 v15, v1, v4 :: v_dual_mul_f32 v0, v3, v9
	v_mul_f32_e32 v45, v2, v9
	ds_store_b64 v64, v[14:15]
	v_fma_f32 v44, v2, v8, -v0
	v_add_co_u32 v0, vcc_lo, 0x15000, v88
	v_add_co_ci_u32_e32 v1, vcc_lo, 0, v76, vcc_lo
	v_fmac_f32_e32 v45, v3, v8
	s_clause 0x1
	global_load_b64 v[8:9], v[0:1], off offset:1464
	global_load_b64 v[14:15], v[0:1], off offset:3408
	v_add_co_u32 v16, vcc_lo, 0x12000, v88
	v_add_co_ci_u32_e32 v17, vcc_lo, 0, v76, vcc_lo
	s_clause 0x1
	global_load_b64 v[18:19], v[16:17], off offset:144
	global_load_b64 v[6:7], v[6:7], off offset:2296
	ds_load_2addr_b64 v[0:3], v75 offset0:6 offset1:249
	s_waitcnt vmcnt(3) lgkmcnt(0)
	v_mul_f32_e32 v4, v1, v9
	v_mul_f32_e32 v21, v0, v9
	s_waitcnt vmcnt(2)
	v_mul_f32_e32 v47, v2, v15
	s_delay_alu instid0(VALU_DEP_3) | instskip(NEXT) | instid1(VALU_DEP_3)
	v_fma_f32 v20, v0, v8, -v4
	v_dual_mul_f32 v0, v3, v15 :: v_dual_fmac_f32 v21, v1, v8
	s_delay_alu instid0(VALU_DEP_3) | instskip(NEXT) | instid1(VALU_DEP_2)
	v_fmac_f32_e32 v47, v3, v14
	v_fma_f32 v46, v2, v14, -v0
	ds_load_2addr_b64 v[0:3], v236 offset0:6 offset1:249
	s_waitcnt vmcnt(0) lgkmcnt(0)
	v_mul_f32_e32 v4, v1, v7
	v_mul_f32_e32 v15, v0, v7
	;; [unrolled: 1-line block ×3, first 2 shown]
	s_delay_alu instid0(VALU_DEP_3) | instskip(NEXT) | instid1(VALU_DEP_3)
	v_fma_f32 v14, v0, v6, -v4
	v_dual_mul_f32 v0, v3, v19 :: v_dual_fmac_f32 v15, v1, v6
	s_delay_alu instid0(VALU_DEP_3) | instskip(NEXT) | instid1(VALU_DEP_2)
	v_fmac_f32_e32 v9, v3, v18
	v_fma_f32 v8, v2, v18, -v0
	ds_load_2addr_b64 v[0:3], v89 offset0:6 offset1:249
	s_waitcnt lgkmcnt(0)
	v_mul_f32_e32 v4, v1, v11
	v_mul_f32_e32 v19, v0, v11
	s_delay_alu instid0(VALU_DEP_2) | instskip(SKIP_1) | instid1(VALU_DEP_3)
	v_fma_f32 v18, v0, v10, -v4
	v_add_co_u32 v0, vcc_lo, 0xe000, v88
	v_fmac_f32_e32 v19, v1, v10
	v_add_co_ci_u32_e32 v1, vcc_lo, 0, v76, vcc_lo
	v_add_co_u32 v10, vcc_lo, 0x17000, v88
	v_add_co_ci_u32_e32 v11, vcc_lo, 0, v76, vcc_lo
	s_clause 0x3
	global_load_b64 v[22:23], v[0:1], off offset:976
	global_load_b64 v[24:25], v[0:1], off offset:2920
	;; [unrolled: 1-line block ×4, first 2 shown]
	s_waitcnt vmcnt(3)
	v_mul_f32_e32 v0, v3, v23
	v_mul_f32_e32 v29, v2, v23
	s_delay_alu instid0(VALU_DEP_2) | instskip(SKIP_2) | instid1(VALU_DEP_4)
	v_fma_f32 v28, v2, v22, -v0
	v_add_co_u32 v0, vcc_lo, 0x16000, v88
	v_add_co_ci_u32_e32 v1, vcc_lo, 0, v76, vcc_lo
	v_fmac_f32_e32 v29, v3, v22
	s_clause 0x3
	global_load_b64 v[22:23], v[0:1], off offset:1256
	global_load_b64 v[30:31], v[0:1], off offset:3200
	global_load_b64 v[32:33], v[16:17], off offset:4032
	global_load_b64 v[16:17], v[16:17], off offset:2088
	ds_load_2addr_b64 v[0:3], v65 offset0:12 offset1:255
	s_waitcnt vmcnt(3) lgkmcnt(0)
	v_mul_f32_e32 v4, v1, v23
	v_mul_f32_e32 v35, v0, v23
	s_waitcnt vmcnt(2)
	v_mul_f32_e32 v23, v2, v31
	s_delay_alu instid0(VALU_DEP_3) | instskip(NEXT) | instid1(VALU_DEP_3)
	v_fma_f32 v34, v0, v22, -v4
	v_dual_mul_f32 v0, v3, v31 :: v_dual_fmac_f32 v35, v1, v22
	s_delay_alu instid0(VALU_DEP_3) | instskip(NEXT) | instid1(VALU_DEP_2)
	v_fmac_f32_e32 v23, v3, v30
	v_fma_f32 v22, v2, v30, -v0
	ds_load_2addr_b64 v[0:3], v48 offset0:4 offset1:247
	s_waitcnt vmcnt(0) lgkmcnt(0)
	v_mul_f32_e32 v4, v1, v17
	v_mul_f32_e32 v31, v0, v17
	;; [unrolled: 1-line block ×3, first 2 shown]
	s_delay_alu instid0(VALU_DEP_3) | instskip(NEXT) | instid1(VALU_DEP_3)
	v_fma_f32 v30, v0, v16, -v4
	v_dual_mul_f32 v0, v3, v33 :: v_dual_fmac_f32 v31, v1, v16
	s_delay_alu instid0(VALU_DEP_3) | instskip(NEXT) | instid1(VALU_DEP_2)
	v_fmac_f32_e32 v17, v3, v32
	v_fma_f32 v16, v2, v32, -v0
	ds_load_2addr_b64 v[0:3], v38 offset0:12 offset1:255
	s_waitcnt lgkmcnt(0)
	v_mul_f32_e32 v4, v1, v25
	v_mul_f32_e32 v33, v0, v25
	s_delay_alu instid0(VALU_DEP_2) | instskip(SKIP_1) | instid1(VALU_DEP_3)
	v_fma_f32 v32, v0, v24, -v4
	v_add_co_u32 v0, vcc_lo, 0xf000, v88
	v_fmac_f32_e32 v33, v1, v24
	v_add_co_ci_u32_e32 v1, vcc_lo, 0, v76, vcc_lo
	v_add_co_u32 v24, vcc_lo, 0x13000, v88
	v_add_co_ci_u32_e32 v25, vcc_lo, 0, v76, vcc_lo
	s_clause 0x2
	global_load_b64 v[36:37], v[0:1], off offset:768
	global_load_b64 v[38:39], v[24:25], off offset:3824
	;; [unrolled: 1-line block ×3, first 2 shown]
	s_waitcnt vmcnt(2)
	v_mul_f32_e32 v0, v3, v37
	v_mul_f32_e32 v43, v2, v37
	s_delay_alu instid0(VALU_DEP_2) | instskip(NEXT) | instid1(VALU_DEP_2)
	v_fma_f32 v42, v2, v36, -v0
	v_fmac_f32_e32 v43, v3, v36
	ds_load_2addr_b64 v[0:3], v69 offset0:2 offset1:245
	s_waitcnt lgkmcnt(0)
	v_mul_f32_e32 v4, v1, v27
	v_mul_f32_e32 v37, v0, v27
	;; [unrolled: 1-line block ×3, first 2 shown]
	s_delay_alu instid0(VALU_DEP_3) | instskip(NEXT) | instid1(VALU_DEP_3)
	v_fma_f32 v36, v0, v26, -v4
	v_dual_mul_f32 v0, v3, v11 :: v_dual_fmac_f32 v37, v1, v26
	s_delay_alu instid0(VALU_DEP_3) | instskip(NEXT) | instid1(VALU_DEP_2)
	v_fmac_f32_e32 v27, v3, v10
	v_fma_f32 v26, v2, v10, -v0
	global_load_b64 v[10:11], v[24:25], off offset:1880
	ds_load_2addr_b64 v[0:3], v51 offset0:10 offset1:253
	s_waitcnt vmcnt(0) lgkmcnt(0)
	v_mul_f32_e32 v4, v1, v11
	v_mul_f32_e32 v25, v0, v11
	;; [unrolled: 1-line block ×3, first 2 shown]
	s_delay_alu instid0(VALU_DEP_3) | instskip(NEXT) | instid1(VALU_DEP_3)
	v_fma_f32 v24, v0, v10, -v4
	v_dual_mul_f32 v0, v3, v39 :: v_dual_fmac_f32 v25, v1, v10
	s_delay_alu instid0(VALU_DEP_3) | instskip(NEXT) | instid1(VALU_DEP_2)
	v_fmac_f32_e32 v11, v3, v38
	v_fma_f32 v10, v2, v38, -v0
	ds_load_2addr_b64 v[0:3], v57 offset0:2 offset1:245
	s_waitcnt lgkmcnt(0)
	v_mul_f32_e32 v4, v1, v41
	v_mul_f32_e32 v39, v0, v41
	s_delay_alu instid0(VALU_DEP_2) | instskip(SKIP_1) | instid1(VALU_DEP_3)
	v_fma_f32 v38, v0, v40, -v4
	v_add_co_u32 v0, vcc_lo, 0x10000, v88
	v_fmac_f32_e32 v39, v1, v40
	v_add_co_ci_u32_e32 v1, vcc_lo, 0, v76, vcc_lo
	v_add_co_u32 v40, vcc_lo, 0x18000, v88
	v_add_co_ci_u32_e32 v41, vcc_lo, 0, v76, vcc_lo
	s_clause 0x3
	global_load_b64 v[66:67], v[0:1], off offset:560
	global_load_b64 v[77:78], v[0:1], off offset:2504
	;; [unrolled: 1-line block ×4, first 2 shown]
	s_waitcnt vmcnt(3)
	v_mul_f32_e32 v0, v3, v67
	v_mul_f32_e32 v55, v2, v67
	s_delay_alu instid0(VALU_DEP_2) | instskip(NEXT) | instid1(VALU_DEP_2)
	v_fma_f32 v54, v2, v66, -v0
	v_fmac_f32_e32 v55, v3, v66
	ds_load_2addr_b64 v[0:3], v70 offset0:8 offset1:251
	s_waitcnt vmcnt(0) lgkmcnt(0)
	v_mul_f32_e32 v6, v1, v41
	v_mul_f32_e32 v67, v0, v41
	;; [unrolled: 1-line block ×3, first 2 shown]
	s_delay_alu instid0(VALU_DEP_3) | instskip(NEXT) | instid1(VALU_DEP_3)
	v_fma_f32 v66, v0, v40, -v6
	v_dual_mul_f32 v0, v3, v5 :: v_dual_fmac_f32 v67, v1, v40
	s_delay_alu instid0(VALU_DEP_3) | instskip(NEXT) | instid1(VALU_DEP_2)
	v_fmac_f32_e32 v41, v3, v4
	v_fma_f32 v40, v2, v4, -v0
	ds_load_2addr_b64 v[0:3], v90 offset0:8 offset1:251
	s_waitcnt lgkmcnt(0)
	v_mul_f32_e32 v4, v3, v13
	v_mul_f32_e32 v7, v2, v13
	;; [unrolled: 1-line block ×3, first 2 shown]
	s_delay_alu instid0(VALU_DEP_3) | instskip(NEXT) | instid1(VALU_DEP_3)
	v_fma_f32 v6, v2, v12, -v4
	v_dual_mul_f32 v2, v1, v78 :: v_dual_fmac_f32 v7, v3, v12
	s_delay_alu instid0(VALU_DEP_3) | instskip(NEXT) | instid1(VALU_DEP_2)
	v_fmac_f32_e32 v13, v1, v77
	v_fma_f32 v12, v0, v77, -v2
	v_add_co_u32 v0, vcc_lo, 0x14000, v88
	v_add_co_ci_u32_e32 v1, vcc_lo, 0, v76, vcc_lo
	v_add_co_u32 v2, vcc_lo, 0x19000, v88
	v_add_co_ci_u32_e32 v3, vcc_lo, 0, v76, vcc_lo
	s_clause 0x2
	global_load_b64 v[76:77], v[0:1], off offset:1672
	global_load_b64 v[78:79], v[0:1], off offset:3616
	;; [unrolled: 1-line block ×3, first 2 shown]
	ds_load_2addr_b64 v[0:3], v58 offset1:243
	s_waitcnt vmcnt(2) lgkmcnt(0)
	v_mul_f32_e32 v52, v1, v77
	v_mul_f32_e32 v53, v0, v77
	s_delay_alu instid0(VALU_DEP_2) | instskip(SKIP_1) | instid1(VALU_DEP_2)
	v_fma_f32 v52, v0, v76, -v52
	s_waitcnt vmcnt(1)
	v_dual_mul_f32 v0, v3, v79 :: v_dual_fmac_f32 v53, v1, v76
	v_mul_f32_e32 v1, v2, v79
	s_delay_alu instid0(VALU_DEP_2) | instskip(NEXT) | instid1(VALU_DEP_2)
	v_fma_f32 v0, v2, v78, -v0
	v_dual_fmac_f32 v1, v3, v78 :: v_dual_add_nc_u32 v2, 0x4400, v64
	ds_store_2addr_b64 v2, v[6:7], v[14:15] offset0:11 offset1:254
	v_add_nc_u32_e32 v2, 0x780, v64
	ds_store_2addr_b64 v2, v[44:45], v[18:19] offset0:3 offset1:246
	v_add_nc_u32_e32 v2, 0x5380, v64
	;; [unrolled: 2-line block ×8, first 2 shown]
	ds_store_2addr_b64 v2, v[0:1], v[20:21] offset0:3 offset1:246
	ds_load_b64 v[0:1], v64 offset:50544
	s_waitcnt vmcnt(0) lgkmcnt(0)
	v_mul_f32_e32 v2, v1, v5
	v_mul_f32_e32 v3, v0, v5
	s_delay_alu instid0(VALU_DEP_2) | instskip(NEXT) | instid1(VALU_DEP_2)
	v_fma_f32 v2, v0, v4, -v2
	v_fmac_f32_e32 v3, v1, v4
	ds_store_2addr_b64 v91, v[46:47], v[34:35] offset0:9 offset1:252
	ds_store_2addr_b64 v255, v[22:23], v[36:37] offset0:7 offset1:250
	;; [unrolled: 1-line block ×4, first 2 shown]
	s_waitcnt lgkmcnt(0)
	s_barrier
	buffer_gl0_inv
	ds_load_2addr_b64 v[32:35], v64 offset1:243
	ds_load_2addr_b64 v[4:7], v90 offset0:8 offset1:251
	ds_load_2addr_b64 v[8:11], v75 offset0:6 offset1:249
	s_waitcnt lgkmcnt(1)
	v_dual_add_f32 v0, v32, v6 :: v_dual_add_f32 v1, v33, v7
	s_waitcnt lgkmcnt(0)
	s_delay_alu instid0(VALU_DEP_1) | instskip(NEXT) | instid1(VALU_DEP_2)
	v_add_f32_e32 v44, v0, v8
	v_dual_add_f32 v0, v6, v8 :: v_dual_add_f32 v45, v1, v9
	v_add_f32_e32 v1, v7, v9
	s_delay_alu instid0(VALU_DEP_2) | instskip(SKIP_1) | instid1(VALU_DEP_3)
	v_fma_f32 v32, -0.5, v0, v32
	v_sub_f32_e32 v0, v7, v9
	v_fma_f32 v33, -0.5, v1, v33
	s_delay_alu instid0(VALU_DEP_2)
	v_fmamk_f32 v46, v0, 0xbf5db3d7, v32
	v_fmac_f32_e32 v32, 0x3f5db3d7, v0
	v_sub_f32_e32 v0, v6, v8
	ds_load_b64 v[52:53], v64 offset:50544
	ds_load_2addr_b64 v[6:9], v236 offset0:6 offset1:249
	ds_load_2addr_b64 v[12:15], v89 offset0:6 offset1:249
	;; [unrolled: 1-line block ×7, first 2 shown]
	v_dual_mov_b32 v51, v70 :: v_dual_mov_b32 v70, v75
	v_fmamk_f32 v47, v0, 0x3f5db3d7, v33
	v_fmac_f32_e32 v33, 0xbf5db3d7, v0
	ds_load_2addr_b64 v[0:3], v57 offset0:2 offset1:245
	ds_load_2addr_b64 v[36:39], v51 offset0:8 offset1:251
	ds_load_2addr_b64 v[40:43], v58 offset1:243
	s_waitcnt lgkmcnt(0)
	s_barrier
	buffer_gl0_inv
	scratch_load_b32 v48, off, off offset:252 ; 4-byte Folded Reload
	s_waitcnt vmcnt(0)
	ds_store_2addr_b64 v48, v[44:45], v[46:47] offset1:1
	v_dual_add_f32 v44, v34, v6 :: v_dual_add_f32 v45, v35, v7
	v_sub_f32_e32 v47, v7, v11
	v_dual_add_f32 v7, v7, v11 :: v_dual_add_f32 v46, v6, v10
	s_delay_alu instid0(VALU_DEP_3) | instskip(NEXT) | instid1(VALU_DEP_4)
	v_add_f32_e32 v44, v44, v10
	v_dual_sub_f32 v10, v6, v10 :: v_dual_add_f32 v45, v45, v11
	s_delay_alu instid0(VALU_DEP_3) | instskip(NEXT) | instid1(VALU_DEP_4)
	v_fmac_f32_e32 v35, -0.5, v7
	v_fma_f32 v34, -0.5, v46, v34
	ds_store_b64 v48, v[32:33] offset:16
	v_dual_sub_f32 v32, v8, v16 :: v_dual_sub_f32 v11, v9, v17
	v_fmamk_f32 v7, v10, 0x3f5db3d7, v35
	v_fmac_f32_e32 v35, 0xbf5db3d7, v10
	scratch_load_b32 v10, off, off offset:236 ; 4-byte Folded Reload
	v_fmamk_f32 v6, v47, 0xbf5db3d7, v34
	v_fmac_f32_e32 v34, 0x3f5db3d7, v47
	s_waitcnt vmcnt(0)
	ds_store_2addr_b64 v10, v[44:45], v[6:7] offset1:1
	ds_store_b64 v10, v[34:35] offset:16
	v_add_f32_e32 v10, v12, v8
	v_dual_add_f32 v6, v8, v16 :: v_dual_add_f32 v7, v9, v17
	s_delay_alu instid0(VALU_DEP_2)
	v_dual_add_f32 v9, v13, v9 :: v_dual_add_f32 v8, v10, v16
	scratch_load_b32 v16, off, off offset:248 ; 4-byte Folded Reload
	v_fma_f32 v6, -0.5, v6, v12
	v_fma_f32 v7, -0.5, v7, v13
	v_add_f32_e32 v9, v9, v17
	v_dual_add_f32 v12, v21, v19 :: v_dual_sub_f32 v13, v20, v18
	s_delay_alu instid0(VALU_DEP_4) | instskip(NEXT) | instid1(VALU_DEP_4)
	v_fmamk_f32 v10, v11, 0xbf5db3d7, v6
	v_dual_fmac_f32 v6, 0x3f5db3d7, v11 :: v_dual_fmamk_f32 v11, v32, 0x3f5db3d7, v7
	v_fmac_f32_e32 v7, 0xbf5db3d7, v32
	s_waitcnt vmcnt(0)
	ds_store_2addr_b64 v16, v[8:9], v[10:11] offset1:1
	ds_store_b64 v16, v[6:7] offset:16
	v_add_f32_e32 v10, v20, v18
	v_dual_add_f32 v8, v14, v20 :: v_dual_add_f32 v9, v15, v21
	v_sub_f32_e32 v11, v21, v19
	v_fmac_f32_e32 v15, -0.5, v12
	s_delay_alu instid0(VALU_DEP_4)
	v_fma_f32 v14, -0.5, v10, v14
	scratch_load_b32 v10, off, off offset:232 ; 4-byte Folded Reload
	v_dual_add_f32 v8, v8, v18 :: v_dual_add_f32 v9, v9, v19
	v_fmamk_f32 v7, v13, 0x3f5db3d7, v15
	v_fmamk_f32 v6, v11, 0xbf5db3d7, v14
	v_fmac_f32_e32 v14, 0x3f5db3d7, v11
	v_fmac_f32_e32 v15, 0xbf5db3d7, v13
	s_waitcnt vmcnt(0)
	ds_store_2addr_b64 v10, v[8:9], v[6:7] offset1:1
	ds_store_b64 v10, v[14:15] offset:16
	scratch_load_b32 v14, off, off offset:244 ; 4-byte Folded Reload
	v_dual_add_f32 v6, v22, v28 :: v_dual_add_f32 v7, v23, v29
	v_dual_add_f32 v8, v24, v22 :: v_dual_sub_f32 v11, v23, v29
	v_dual_add_f32 v9, v25, v23 :: v_dual_sub_f32 v12, v22, v28
	s_delay_alu instid0(VALU_DEP_3) | instskip(NEXT) | instid1(VALU_DEP_4)
	v_fma_f32 v6, -0.5, v6, v24
	v_fma_f32 v7, -0.5, v7, v25
	s_delay_alu instid0(VALU_DEP_3) | instskip(NEXT) | instid1(VALU_DEP_3)
	v_dual_add_f32 v8, v8, v28 :: v_dual_add_f32 v9, v9, v29
	v_dual_sub_f32 v13, v76, v30 :: v_dual_fmamk_f32 v10, v11, 0xbf5db3d7, v6
	s_delay_alu instid0(VALU_DEP_3)
	v_dual_fmac_f32 v6, 0x3f5db3d7, v11 :: v_dual_fmamk_f32 v11, v12, 0x3f5db3d7, v7
	v_dual_fmac_f32 v7, 0xbf5db3d7, v12 :: v_dual_add_f32 v12, v77, v31
	s_waitcnt vmcnt(0)
	ds_store_2addr_b64 v14, v[8:9], v[10:11] offset1:1
	ds_store_b64 v14, v[6:7] offset:16
	v_add_f32_e32 v10, v76, v30
	v_dual_add_f32 v8, v26, v76 :: v_dual_add_f32 v9, v27, v77
	v_sub_f32_e32 v11, v77, v31
	v_fmac_f32_e32 v27, -0.5, v12
	s_delay_alu instid0(VALU_DEP_4)
	v_fma_f32 v26, -0.5, v10, v26
	scratch_load_b32 v10, off, off offset:228 ; 4-byte Folded Reload
	v_dual_add_f32 v8, v8, v30 :: v_dual_add_f32 v9, v9, v31
	v_fmamk_f32 v7, v13, 0x3f5db3d7, v27
	v_fmamk_f32 v6, v11, 0xbf5db3d7, v26
	v_fmac_f32_e32 v26, 0x3f5db3d7, v11
	v_fmac_f32_e32 v27, 0xbf5db3d7, v13
	s_waitcnt vmcnt(0)
	ds_store_2addr_b64 v10, v[8:9], v[6:7] offset1:1
	ds_store_b64 v10, v[26:27] offset:16
	scratch_load_b32 v12, off, off offset:240 ; 4-byte Folded Reload
	v_dual_add_f32 v7, v78, v36 :: v_dual_add_f32 v8, v79, v37
	v_dual_add_f32 v6, v0, v78 :: v_dual_sub_f32 v9, v79, v37
	v_dual_add_f32 v10, v1, v79 :: v_dual_sub_f32 v11, v78, v36
	s_delay_alu instid0(VALU_DEP_3) | instskip(NEXT) | instid1(VALU_DEP_4)
	v_fma_f32 v0, -0.5, v7, v0
	v_fma_f32 v1, -0.5, v8, v1
	s_delay_alu instid0(VALU_DEP_4) | instskip(NEXT) | instid1(VALU_DEP_4)
	v_add_f32_e32 v6, v6, v36
	v_dual_add_f32 v7, v10, v37 :: v_dual_add_f32 v10, v41, v39
	s_delay_alu instid0(VALU_DEP_4) | instskip(NEXT) | instid1(VALU_DEP_4)
	v_fmamk_f32 v8, v9, 0xbf5db3d7, v0
	v_dual_fmac_f32 v0, 0x3f5db3d7, v9 :: v_dual_fmamk_f32 v9, v11, 0x3f5db3d7, v1
	v_fmac_f32_e32 v1, 0xbf5db3d7, v11
	v_dual_sub_f32 v11, v40, v38 :: v_dual_mov_b32 v78, v58
	s_waitcnt vmcnt(0)
	ds_store_2addr_b64 v12, v[6:7], v[8:9] offset1:1
	ds_store_b64 v12, v[0:1] offset:16
	v_add_f32_e32 v8, v40, v38
	v_dual_add_f32 v6, v2, v40 :: v_dual_add_f32 v7, v3, v41
	v_sub_f32_e32 v9, v41, v39
	v_fmac_f32_e32 v3, -0.5, v10
	s_delay_alu instid0(VALU_DEP_4)
	v_fma_f32 v2, -0.5, v8, v2
	scratch_load_b32 v8, off, off offset:256 ; 4-byte Folded Reload
	v_dual_add_f32 v6, v6, v38 :: v_dual_add_f32 v7, v7, v39
	v_fmamk_f32 v1, v11, 0x3f5db3d7, v3
	v_fmamk_f32 v0, v9, 0xbf5db3d7, v2
	v_fmac_f32_e32 v2, 0x3f5db3d7, v9
	v_fmac_f32_e32 v3, 0xbf5db3d7, v11
	s_waitcnt vmcnt(0)
	ds_store_2addr_b64 v8, v[6:7], v[0:1] offset1:1
	ds_store_b64 v8, v[2:3] offset:16
	v_dual_add_f32 v6, v43, v53 :: v_dual_add_f32 v1, v5, v43
	v_add_f32_e32 v2, v42, v52
	v_dual_add_f32 v0, v4, v42 :: v_dual_sub_f32 v3, v43, v53
	s_delay_alu instid0(VALU_DEP_3) | instskip(SKIP_4) | instid1(VALU_DEP_2)
	v_fmac_f32_e32 v5, -0.5, v6
	scratch_load_b32 v6, off, off offset:260 ; 4-byte Folded Reload
	v_sub_f32_e32 v7, v42, v52
	v_fma_f32 v4, -0.5, v2, v4
	v_dual_add_f32 v0, v0, v52 :: v_dual_add_f32 v1, v1, v53
	v_fmamk_f32 v2, v3, 0xbf5db3d7, v4
	s_delay_alu instid0(VALU_DEP_4)
	v_dual_fmac_f32 v4, 0x3f5db3d7, v3 :: v_dual_fmamk_f32 v3, v7, 0x3f5db3d7, v5
	v_fmac_f32_e32 v5, 0xbf5db3d7, v7
	s_waitcnt vmcnt(0)
	ds_store_2addr_b64 v6, v[0:1], v[2:3] offset1:1
	ds_store_b64 v6, v[4:5] offset:16
	s_waitcnt lgkmcnt(0)
	s_barrier
	buffer_gl0_inv
	scratch_load_b128 v[4:7], off, off offset:472 ; 16-byte Folded Reload
	ds_load_b64 v[0:1], v64 offset:50544
	scratch_load_b128 v[9:12], off, off offset:352 ; 16-byte Folded Reload
	s_waitcnt vmcnt(1) lgkmcnt(0)
	v_mul_f32_e32 v22, v7, v1
	s_delay_alu instid0(VALU_DEP_1) | instskip(SKIP_1) | instid1(VALU_DEP_1)
	v_fmac_f32_e32 v22, v6, v0
	v_mul_f32_e32 v0, v7, v0
	v_fma_f32 v23, v6, v1, -v0
	ds_load_2addr_b64 v[0:3], v58 offset1:243
	v_dual_mov_b32 v69, v50 :: v_dual_mov_b32 v50, v51
	s_waitcnt lgkmcnt(0)
	v_mul_f32_e32 v24, v5, v3
	v_mov_b32_e32 v49, v57
	s_delay_alu instid0(VALU_DEP_2) | instskip(SKIP_1) | instid1(VALU_DEP_1)
	v_dual_mov_b32 v57, v65 :: v_dual_fmac_f32 v24, v4, v2
	v_mul_f32_e32 v2, v5, v2
	v_fma_f32 v25, v4, v3, -v2
	scratch_load_b128 v[2:5], off, off offset:412 ; 16-byte Folded Reload
	s_waitcnt vmcnt(0)
	v_mul_f32_e32 v26, v3, v1
	s_delay_alu instid0(VALU_DEP_1) | instskip(SKIP_1) | instid1(VALU_DEP_1)
	v_fmac_f32_e32 v26, v2, v0
	v_mul_f32_e32 v0, v3, v0
	v_fma_f32 v27, v2, v1, -v0
	ds_load_2addr_b64 v[0:3], v51 offset0:8 offset1:251
	s_waitcnt lgkmcnt(0)
	v_mul_f32_e32 v28, v5, v3
	s_delay_alu instid0(VALU_DEP_1) | instskip(SKIP_1) | instid1(VALU_DEP_1)
	v_fmac_f32_e32 v28, v4, v2
	v_mul_f32_e32 v2, v5, v2
	v_fma_f32 v29, v4, v3, -v2
	scratch_load_b128 v[4:7], off, off offset:384 ; 16-byte Folded Reload
	s_waitcnt vmcnt(0)
	v_mul_f32_e32 v30, v7, v1
	s_delay_alu instid0(VALU_DEP_1) | instskip(SKIP_1) | instid1(VALU_DEP_1)
	v_fmac_f32_e32 v30, v6, v0
	v_mul_f32_e32 v0, v7, v0
	v_fma_f32 v31, v6, v1, -v0
	ds_load_2addr_b64 v[0:3], v254 offset0:10 offset1:253
	s_waitcnt lgkmcnt(0)
	v_mul_f32_e32 v32, v5, v3
	s_delay_alu instid0(VALU_DEP_1) | instskip(SKIP_1) | instid1(VALU_DEP_1)
	v_fmac_f32_e32 v32, v4, v2
	;; [unrolled: 14-line block ×6, first 2 shown]
	v_mul_f32_e32 v2, v5, v2
	v_fma_f32 v53, v4, v3, -v2
	scratch_load_b128 v[2:5], off, off offset:264 ; 16-byte Folded Reload
	s_waitcnt vmcnt(0)
	v_mul_f32_e32 v54, v3, v1
	s_delay_alu instid0(VALU_DEP_1) | instskip(SKIP_1) | instid1(VALU_DEP_1)
	v_fmac_f32_e32 v54, v2, v0
	v_mul_f32_e32 v0, v3, v0
	v_fma_f32 v55, v2, v1, -v0
	ds_load_2addr_b64 v[0:3], v75 offset0:6 offset1:249
	s_waitcnt lgkmcnt(0)
	v_dual_mul_f32 v65, v5, v3 :: v_dual_mul_f32 v6, v12, v1
	s_delay_alu instid0(VALU_DEP_1) | instskip(SKIP_1) | instid1(VALU_DEP_3)
	v_fmac_f32_e32 v65, v4, v2
	v_mul_f32_e32 v2, v5, v2
	v_fmac_f32_e32 v6, v11, v0
	v_mul_f32_e32 v0, v12, v0
	s_delay_alu instid0(VALU_DEP_3) | instskip(NEXT) | instid1(VALU_DEP_2)
	v_fma_f32 v66, v4, v3, -v2
	v_fma_f32 v7, v11, v1, -v0
	ds_load_2addr_b64 v[0:3], v90 offset0:8 offset1:251
	s_waitcnt lgkmcnt(0)
	v_mul_f32_e32 v8, v10, v3
	s_delay_alu instid0(VALU_DEP_1) | instskip(SKIP_1) | instid1(VALU_DEP_2)
	v_fmac_f32_e32 v8, v9, v2
	v_mul_f32_e32 v2, v10, v2
	v_sub_f32_e32 v76, v8, v6
	s_delay_alu instid0(VALU_DEP_2)
	v_fma_f32 v9, v9, v3, -v2
	ds_load_2addr_b64 v[2:5], v64 offset1:243
	v_mov_b32_e32 v77, v236
	v_sub_f32_e32 v67, v9, v7
	s_waitcnt lgkmcnt(0)
	v_dual_add_f32 v11, v3, v9 :: v_dual_add_f32 v10, v2, v8
	s_delay_alu instid0(VALU_DEP_1) | instskip(SKIP_2) | instid1(VALU_DEP_4)
	v_add_f32_e32 v19, v11, v7
	v_add_f32_e32 v7, v9, v7
	;; [unrolled: 1-line block ×4, first 2 shown]
	s_delay_alu instid0(VALU_DEP_3) | instskip(NEXT) | instid1(VALU_DEP_3)
	v_fma_f32 v3, -0.5, v7, v3
	v_fma_f32 v2, -0.5, v9, v2
	ds_load_2addr_b64 v[6:9], v89 offset0:6 offset1:249
	ds_load_2addr_b64 v[10:13], v69 offset0:12 offset1:255
	;; [unrolled: 1-line block ×3, first 2 shown]
	s_waitcnt lgkmcnt(0)
	s_barrier
	buffer_gl0_inv
	scratch_load_b32 v48, off, off offset:348 ; 4-byte Folded Reload
	v_fmamk_f32 v20, v67, 0xbf5db3d7, v2
	v_dual_fmamk_f32 v21, v76, 0x3f5db3d7, v3 :: v_dual_fmac_f32 v2, 0x3f5db3d7, v67
	v_fmac_f32_e32 v3, 0xbf5db3d7, v76
	v_mov_b32_e32 v67, v56
	s_waitcnt vmcnt(0)
	ds_store_2addr_b64 v48, v[18:19], v[20:21] offset1:3
	ds_store_b64 v48, v[2:3] offset:48
	scratch_load_b32 v48, off, off offset:344 ; 4-byte Folded Reload
	v_dual_add_f32 v2, v54, v65 :: v_dual_add_f32 v3, v4, v54
	v_add_f32_e32 v18, v5, v55
	v_sub_f32_e32 v20, v55, v66
	s_delay_alu instid0(VALU_DEP_3) | instskip(NEXT) | instid1(VALU_DEP_3)
	v_fma_f32 v4, -0.5, v2, v4
	v_dual_add_f32 v2, v3, v65 :: v_dual_add_f32 v3, v18, v66
	v_add_f32_e32 v18, v55, v66
	s_delay_alu instid0(VALU_DEP_1) | instskip(SKIP_4) | instid1(VALU_DEP_2)
	v_dual_fmac_f32 v5, -0.5, v18 :: v_dual_fmamk_f32 v18, v20, 0xbf5db3d7, v4
	v_fmac_f32_e32 v4, 0x3f5db3d7, v20
	scratch_load_b32 v20, off, off offset:340 ; 4-byte Folded Reload
	v_sub_f32_e32 v21, v54, v65
	v_mov_b32_e32 v65, v50
	v_fmamk_f32 v19, v21, 0x3f5db3d7, v5
	v_fmac_f32_e32 v5, 0xbf5db3d7, v21
	s_waitcnt vmcnt(1)
	ds_store_b64 v48, v[4:5] offset:48
	v_add_f32_e32 v4, v52, v46
	ds_store_2addr_b64 v48, v[2:3], v[18:19] offset1:3
	v_sub_f32_e32 v18, v53, v47
	v_dual_add_f32 v2, v6, v52 :: v_dual_add_f32 v5, v53, v47
	v_fma_f32 v4, -0.5, v4, v6
	v_add_f32_e32 v3, v7, v53
	v_sub_f32_e32 v19, v52, v46
	s_delay_alu instid0(VALU_DEP_4)
	v_add_f32_e32 v2, v2, v46
	v_fma_f32 v5, -0.5, v5, v7
	v_fmamk_f32 v6, v18, 0xbf5db3d7, v4
	v_fmac_f32_e32 v4, 0x3f5db3d7, v18
	scratch_load_b32 v18, off, off offset:336 ; 4-byte Folded Reload
	v_add_f32_e32 v3, v3, v47
	v_fmamk_f32 v7, v19, 0x3f5db3d7, v5
	s_waitcnt vmcnt(1)
	ds_store_2addr_b64 v20, v[2:3], v[6:7] offset1:3
	v_dual_sub_f32 v6, v43, v45 :: v_dual_fmac_f32 v5, 0xbf5db3d7, v19
	v_dual_add_f32 v2, v42, v44 :: v_dual_add_f32 v3, v8, v42
	v_sub_f32_e32 v7, v42, v44
	ds_store_b64 v20, v[4:5] offset:48
	v_add_f32_e32 v4, v9, v43
	v_fma_f32 v8, -0.5, v2, v8
	s_delay_alu instid0(VALU_DEP_2) | instskip(SKIP_1) | instid1(VALU_DEP_1)
	v_dual_add_f32 v2, v3, v44 :: v_dual_add_f32 v3, v4, v45
	v_add_f32_e32 v4, v43, v45
	v_dual_fmac_f32 v9, -0.5, v4 :: v_dual_fmamk_f32 v4, v6, 0xbf5db3d7, v8
	s_delay_alu instid0(VALU_DEP_1)
	v_dual_fmac_f32 v8, 0x3f5db3d7, v6 :: v_dual_fmamk_f32 v5, v7, 0x3f5db3d7, v9
	v_fmac_f32_e32 v9, 0xbf5db3d7, v7
	s_waitcnt vmcnt(0)
	ds_store_2addr_b64 v18, v[2:3], v[4:5] offset1:3
	v_add_f32_e32 v4, v40, v38
	v_add_f32_e32 v2, v10, v40
	ds_store_b64 v18, v[8:9] offset:48
	v_sub_f32_e32 v8, v41, v39
	v_add_f32_e32 v5, v41, v39
	v_fma_f32 v4, -0.5, v4, v10
	scratch_load_b32 v10, off, off offset:332 ; 4-byte Folded Reload
	v_add_f32_e32 v3, v11, v41
	v_sub_f32_e32 v9, v40, v38
	v_fma_f32 v5, -0.5, v5, v11
	v_fmamk_f32 v6, v8, 0xbf5db3d7, v4
	v_fmac_f32_e32 v4, 0x3f5db3d7, v8
	scratch_load_b32 v8, off, off offset:328 ; 4-byte Folded Reload
	v_dual_add_f32 v2, v2, v38 :: v_dual_add_f32 v3, v3, v39
	v_fmamk_f32 v7, v9, 0x3f5db3d7, v5
	s_waitcnt vmcnt(1)
	ds_store_2addr_b64 v10, v[2:3], v[6:7] offset1:3
	v_sub_f32_e32 v6, v35, v37
	v_dual_fmac_f32 v5, 0xbf5db3d7, v9 :: v_dual_add_f32 v2, v34, v36
	v_add_f32_e32 v3, v12, v34
	v_sub_f32_e32 v7, v34, v36
	v_sub_f32_e32 v9, v32, v30
	ds_store_b64 v10, v[4:5] offset:48
	v_add_f32_e32 v4, v13, v35
	v_fma_f32 v12, -0.5, v2, v12
	v_add_f32_e32 v2, v3, v36
	scratch_load_b32 v10, off, off offset:400 ; 4-byte Folded Reload
	v_add_f32_e32 v3, v4, v37
	v_add_f32_e32 v4, v35, v37
	s_delay_alu instid0(VALU_DEP_1) | instskip(NEXT) | instid1(VALU_DEP_1)
	v_dual_fmac_f32 v13, -0.5, v4 :: v_dual_fmamk_f32 v4, v6, 0xbf5db3d7, v12
	v_dual_fmac_f32 v12, 0x3f5db3d7, v6 :: v_dual_fmamk_f32 v5, v7, 0x3f5db3d7, v13
	s_waitcnt vmcnt(1)
	ds_store_2addr_b64 v8, v[2:3], v[4:5] offset1:3
	v_dual_add_f32 v4, v32, v30 :: v_dual_fmac_f32 v13, 0xbf5db3d7, v7
	v_dual_add_f32 v5, v33, v31 :: v_dual_add_f32 v2, v14, v32
	v_add_f32_e32 v3, v15, v33
	s_delay_alu instid0(VALU_DEP_3) | instskip(SKIP_4) | instid1(VALU_DEP_3)
	v_fma_f32 v4, -0.5, v4, v14
	ds_store_b64 v8, v[12:13] offset:48
	v_sub_f32_e32 v8, v33, v31
	v_fma_f32 v5, -0.5, v5, v15
	v_add_f32_e32 v2, v2, v30
	v_fmamk_f32 v6, v8, 0xbf5db3d7, v4
	v_fmac_f32_e32 v4, 0x3f5db3d7, v8
	scratch_load_b32 v8, off, off offset:404 ; 4-byte Folded Reload
	v_fmamk_f32 v7, v9, 0x3f5db3d7, v5
	v_fmac_f32_e32 v5, 0xbf5db3d7, v9
	s_waitcnt vmcnt(1)
	ds_store_b64 v10, v[4:5] offset:48
	v_add_f32_e32 v4, v17, v27
	v_add_f32_e32 v3, v3, v31
	ds_store_2addr_b64 v10, v[2:3], v[6:7] offset1:3
	v_dual_add_f32 v2, v26, v28 :: v_dual_add_f32 v3, v16, v26
	v_dual_sub_f32 v6, v27, v29 :: v_dual_sub_f32 v7, v26, v28
	s_delay_alu instid0(VALU_DEP_2) | instskip(NEXT) | instid1(VALU_DEP_3)
	v_fma_f32 v16, -0.5, v2, v16
	v_dual_add_f32 v2, v3, v28 :: v_dual_add_f32 v3, v4, v29
	v_add_f32_e32 v4, v27, v29
	s_delay_alu instid0(VALU_DEP_1) | instskip(SKIP_1) | instid1(VALU_DEP_2)
	v_dual_fmac_f32 v17, -0.5, v4 :: v_dual_fmamk_f32 v4, v6, 0xbf5db3d7, v16
	v_fmac_f32_e32 v16, 0x3f5db3d7, v6
	v_dual_sub_f32 v6, v25, v23 :: v_dual_fmamk_f32 v5, v7, 0x3f5db3d7, v17
	s_waitcnt vmcnt(0)
	ds_store_2addr_b64 v8, v[2:3], v[4:5] offset1:3
	v_add_f32_e32 v2, v24, v22
	v_dual_add_f32 v3, v0, v24 :: v_dual_add_f32 v4, v1, v25
	s_delay_alu instid0(VALU_DEP_2) | instskip(NEXT) | instid1(VALU_DEP_2)
	v_fma_f32 v0, -0.5, v2, v0
	v_dual_add_f32 v2, v3, v22 :: v_dual_fmac_f32 v17, 0xbf5db3d7, v7
	s_delay_alu instid0(VALU_DEP_3) | instskip(SKIP_1) | instid1(VALU_DEP_1)
	v_add_f32_e32 v3, v4, v23
	v_dual_add_f32 v4, v25, v23 :: v_dual_sub_f32 v7, v24, v22
	v_dual_fmac_f32 v1, -0.5, v4 :: v_dual_fmamk_f32 v4, v6, 0xbf5db3d7, v0
	ds_store_b64 v8, v[16:17] offset:48
	scratch_load_b32 v8, off, off offset:408 ; 4-byte Folded Reload
	v_dual_fmac_f32 v0, 0x3f5db3d7, v6 :: v_dual_fmamk_f32 v5, v7, 0x3f5db3d7, v1
	v_fmac_f32_e32 v1, 0xbf5db3d7, v7
	s_waitcnt vmcnt(0)
	ds_store_2addr_b64 v8, v[2:3], v[4:5] offset1:3
	ds_store_b64 v8, v[0:1] offset:48
	s_waitcnt lgkmcnt(0)
	s_barrier
	buffer_gl0_inv
	scratch_load_b128 v[4:7], off, off offset:708 ; 16-byte Folded Reload
	ds_load_b64 v[0:1], v64 offset:50544
	scratch_load_b128 v[9:12], off, off offset:488 ; 16-byte Folded Reload
	ds_load_2addr_b64 v[14:17], v49 offset0:2 offset1:245
	s_waitcnt vmcnt(1) lgkmcnt(1)
	v_mul_f32_e32 v22, v7, v1
	s_delay_alu instid0(VALU_DEP_1) | instskip(SKIP_1) | instid1(VALU_DEP_1)
	v_fmac_f32_e32 v22, v6, v0
	v_mul_f32_e32 v0, v7, v0
	v_fma_f32 v23, v6, v1, -v0
	ds_load_2addr_b64 v[0:3], v58 offset1:243
	s_waitcnt lgkmcnt(0)
	v_mul_f32_e32 v24, v5, v3
	v_mul_f32_e32 v26, v242, v1
	s_delay_alu instid0(VALU_DEP_2) | instskip(SKIP_1) | instid1(VALU_DEP_3)
	v_fmac_f32_e32 v24, v4, v2
	v_mul_f32_e32 v2, v5, v2
	v_fmac_f32_e32 v26, v241, v0
	v_mul_f32_e32 v0, v242, v0
	s_delay_alu instid0(VALU_DEP_3)
	v_fma_f32 v25, v4, v3, -v2
	scratch_load_b128 v[4:7], off, off offset:692 ; 16-byte Folded Reload
	v_fma_f32 v27, v241, v1, -v0
	ds_load_2addr_b64 v[0:3], v51 offset0:8 offset1:251
	s_waitcnt lgkmcnt(0)
	v_mul_f32_e32 v28, v244, v3
	v_mul_f32_e32 v30, v248, v1
	s_delay_alu instid0(VALU_DEP_2) | instskip(SKIP_1) | instid1(VALU_DEP_3)
	v_fmac_f32_e32 v28, v243, v2
	v_mul_f32_e32 v2, v244, v2
	v_fmac_f32_e32 v30, v247, v0
	v_mul_f32_e32 v0, v248, v0
	s_delay_alu instid0(VALU_DEP_3) | instskip(NEXT) | instid1(VALU_DEP_2)
	v_fma_f32 v29, v243, v3, -v2
	v_fma_f32 v31, v247, v1, -v0
	ds_load_2addr_b64 v[0:3], v254 offset0:10 offset1:253
	s_waitcnt lgkmcnt(0)
	v_mul_f32_e32 v32, v246, v3
	v_mul_f32_e32 v34, v250, v1
	s_delay_alu instid0(VALU_DEP_2) | instskip(SKIP_1) | instid1(VALU_DEP_3)
	v_fmac_f32_e32 v32, v245, v2
	v_mul_f32_e32 v2, v246, v2
	v_fmac_f32_e32 v34, v249, v0
	v_mul_f32_e32 v0, v250, v0
	s_delay_alu instid0(VALU_DEP_3) | instskip(NEXT) | instid1(VALU_DEP_2)
	v_fma_f32 v33, v245, v3, -v2
	v_fma_f32 v35, v249, v1, -v0
	ds_load_2addr_b64 v[0:3], v56 offset0:2 offset1:245
	s_waitcnt lgkmcnt(0)
	v_mul_f32_e32 v36, v252, v3
	s_delay_alu instid0(VALU_DEP_1) | instskip(SKIP_1) | instid1(VALU_DEP_1)
	v_fmac_f32_e32 v36, v251, v2
	v_mul_f32_e32 v2, v252, v2
	v_fma_f32 v37, v251, v3, -v2
	s_waitcnt vmcnt(0)
	v_mul_f32_e32 v38, v7, v1
	s_delay_alu instid0(VALU_DEP_1) | instskip(SKIP_1) | instid1(VALU_DEP_1)
	v_fmac_f32_e32 v38, v6, v0
	v_mul_f32_e32 v0, v7, v0
	v_fma_f32 v39, v6, v1, -v0
	ds_load_2addr_b64 v[0:3], v253 offset0:4 offset1:247
	s_waitcnt lgkmcnt(0)
	v_mul_f32_e32 v40, v5, v3
	s_delay_alu instid0(VALU_DEP_1) | instskip(SKIP_1) | instid1(VALU_DEP_1)
	v_fmac_f32_e32 v40, v4, v2
	v_mul_f32_e32 v2, v5, v2
	v_fma_f32 v41, v4, v3, -v2
	scratch_load_b128 v[2:5], off, off offset:676 ; 16-byte Folded Reload
	s_waitcnt vmcnt(0)
	v_mul_f32_e32 v42, v3, v1
	s_delay_alu instid0(VALU_DEP_1) | instskip(SKIP_1) | instid1(VALU_DEP_1)
	v_fmac_f32_e32 v42, v2, v0
	v_mul_f32_e32 v0, v3, v0
	v_fma_f32 v43, v2, v1, -v0
	ds_load_2addr_b64 v[0:3], v57 offset0:12 offset1:255
	s_waitcnt lgkmcnt(0)
	v_mul_f32_e32 v44, v5, v3
	s_delay_alu instid0(VALU_DEP_1) | instskip(SKIP_2) | instid1(VALU_DEP_2)
	v_fmac_f32_e32 v44, v4, v2
	v_mul_f32_e32 v2, v5, v2
	v_mov_b32_e32 v68, v57
	v_fma_f32 v45, v4, v3, -v2
	scratch_load_b128 v[4:7], off, off offset:452 ; 16-byte Folded Reload
	s_waitcnt vmcnt(0)
	v_mul_f32_e32 v46, v7, v1
	s_delay_alu instid0(VALU_DEP_1) | instskip(SKIP_1) | instid1(VALU_DEP_1)
	v_fmac_f32_e32 v46, v6, v0
	v_mul_f32_e32 v0, v7, v0
	v_fma_f32 v47, v6, v1, -v0
	ds_load_2addr_b64 v[0:3], v236 offset0:6 offset1:249
	s_waitcnt lgkmcnt(0)
	v_mul_f32_e32 v52, v5, v3
	s_delay_alu instid0(VALU_DEP_1) | instskip(SKIP_1) | instid1(VALU_DEP_1)
	v_fmac_f32_e32 v52, v4, v2
	v_mul_f32_e32 v2, v5, v2
	v_fma_f32 v53, v4, v3, -v2
	scratch_load_b128 v[2:5], off, off offset:436 ; 16-byte Folded Reload
	s_waitcnt vmcnt(0)
	v_mul_f32_e32 v54, v3, v1
	s_delay_alu instid0(VALU_DEP_1) | instskip(SKIP_1) | instid1(VALU_DEP_1)
	v_fmac_f32_e32 v54, v2, v0
	v_mul_f32_e32 v0, v3, v0
	v_fma_f32 v55, v2, v1, -v0
	ds_load_2addr_b64 v[0:3], v70 offset0:6 offset1:249
	s_waitcnt lgkmcnt(0)
	v_mul_f32_e32 v56, v5, v3
	v_mul_f32_e32 v6, v12, v1
	s_delay_alu instid0(VALU_DEP_2) | instskip(SKIP_1) | instid1(VALU_DEP_3)
	v_fmac_f32_e32 v56, v4, v2
	v_mul_f32_e32 v2, v5, v2
	v_fmac_f32_e32 v6, v11, v0
	v_mul_f32_e32 v0, v12, v0
	s_delay_alu instid0(VALU_DEP_3) | instskip(NEXT) | instid1(VALU_DEP_2)
	v_fma_f32 v57, v4, v3, -v2
	v_fma_f32 v7, v11, v1, -v0
	ds_load_2addr_b64 v[0:3], v90 offset0:8 offset1:251
	s_waitcnt lgkmcnt(0)
	v_mul_f32_e32 v8, v10, v3
	s_delay_alu instid0(VALU_DEP_1) | instskip(SKIP_1) | instid1(VALU_DEP_2)
	v_fmac_f32_e32 v8, v9, v2
	v_mul_f32_e32 v2, v10, v2
	v_sub_f32_e32 v59, v8, v6
	s_delay_alu instid0(VALU_DEP_2) | instskip(SKIP_4) | instid1(VALU_DEP_2)
	v_fma_f32 v9, v9, v3, -v2
	ds_load_2addr_b64 v[2:5], v64 offset1:243
	s_waitcnt lgkmcnt(0)
	v_dual_add_f32 v11, v3, v9 :: v_dual_add_f32 v10, v2, v8
	v_sub_f32_e32 v58, v9, v7
	v_add_f32_e32 v19, v11, v7
	v_add_f32_e32 v7, v9, v7
	;; [unrolled: 1-line block ×4, first 2 shown]
	ds_load_2addr_b64 v[10:13], v69 offset0:12 offset1:255
	v_fma_f32 v3, -0.5, v7, v3
	v_fma_f32 v2, -0.5, v9, v2
	ds_load_2addr_b64 v[6:9], v89 offset0:6 offset1:249
	s_waitcnt lgkmcnt(0)
	s_barrier
	buffer_gl0_inv
	scratch_load_b32 v48, off, off offset:468 ; 4-byte Folded Reload
	v_fmamk_f32 v20, v58, 0xbf5db3d7, v2
	v_dual_fmamk_f32 v21, v59, 0x3f5db3d7, v3 :: v_dual_fmac_f32 v2, 0x3f5db3d7, v58
	v_fmac_f32_e32 v3, 0xbf5db3d7, v59
	s_waitcnt vmcnt(0)
	ds_store_2addr_b64 v48, v[18:19], v[20:21] offset1:9
	ds_store_b64 v48, v[2:3] offset:144
	scratch_load_b32 v48, off, off offset:516 ; 4-byte Folded Reload
	v_dual_add_f32 v2, v54, v56 :: v_dual_add_f32 v3, v4, v54
	v_add_f32_e32 v18, v5, v55
	v_dual_sub_f32 v20, v55, v57 :: v_dual_sub_f32 v21, v54, v56
	s_delay_alu instid0(VALU_DEP_3) | instskip(NEXT) | instid1(VALU_DEP_3)
	v_fma_f32 v4, -0.5, v2, v4
	v_dual_add_f32 v2, v3, v56 :: v_dual_add_f32 v3, v18, v57
	v_add_f32_e32 v18, v55, v57
	s_delay_alu instid0(VALU_DEP_1)
	v_dual_fmac_f32 v5, -0.5, v18 :: v_dual_fmamk_f32 v18, v20, 0xbf5db3d7, v4
	v_fmac_f32_e32 v4, 0x3f5db3d7, v20
	scratch_load_b32 v20, off, off offset:512 ; 4-byte Folded Reload
	v_fmamk_f32 v19, v21, 0x3f5db3d7, v5
	v_fmac_f32_e32 v5, 0xbf5db3d7, v21
	s_waitcnt vmcnt(1)
	ds_store_b64 v48, v[4:5] offset:144
	v_add_f32_e32 v4, v52, v46
	ds_store_2addr_b64 v48, v[2:3], v[18:19] offset1:9
	v_sub_f32_e32 v18, v53, v47
	v_dual_add_f32 v2, v6, v52 :: v_dual_add_f32 v5, v53, v47
	v_fma_f32 v4, -0.5, v4, v6
	v_add_f32_e32 v3, v7, v53
	v_sub_f32_e32 v19, v52, v46
	s_delay_alu instid0(VALU_DEP_4)
	v_add_f32_e32 v2, v2, v46
	v_fma_f32 v5, -0.5, v5, v7
	v_fmamk_f32 v6, v18, 0xbf5db3d7, v4
	v_fmac_f32_e32 v4, 0x3f5db3d7, v18
	scratch_load_b32 v18, off, off offset:508 ; 4-byte Folded Reload
	v_add_f32_e32 v3, v3, v47
	v_fmamk_f32 v7, v19, 0x3f5db3d7, v5
	v_fmac_f32_e32 v5, 0xbf5db3d7, v19
	s_waitcnt vmcnt(1)
	ds_store_2addr_b64 v20, v[2:3], v[6:7] offset1:9
	ds_store_b64 v20, v[4:5] offset:144
	v_dual_add_f32 v2, v42, v44 :: v_dual_add_f32 v3, v8, v42
	v_add_f32_e32 v4, v9, v43
	v_dual_sub_f32 v6, v43, v45 :: v_dual_sub_f32 v7, v42, v44
	s_delay_alu instid0(VALU_DEP_3) | instskip(NEXT) | instid1(VALU_DEP_3)
	v_fma_f32 v8, -0.5, v2, v8
	v_dual_add_f32 v2, v3, v44 :: v_dual_add_f32 v3, v4, v45
	v_add_f32_e32 v4, v43, v45
	s_delay_alu instid0(VALU_DEP_1) | instskip(NEXT) | instid1(VALU_DEP_1)
	v_dual_fmac_f32 v9, -0.5, v4 :: v_dual_fmamk_f32 v4, v6, 0xbf5db3d7, v8
	v_dual_fmac_f32 v8, 0x3f5db3d7, v6 :: v_dual_fmamk_f32 v5, v7, 0x3f5db3d7, v9
	v_fmac_f32_e32 v9, 0xbf5db3d7, v7
	s_waitcnt vmcnt(0)
	ds_store_2addr_b64 v18, v[2:3], v[4:5] offset1:9
	v_add_f32_e32 v4, v40, v38
	v_add_f32_e32 v2, v10, v40
	ds_store_b64 v18, v[8:9] offset:144
	v_sub_f32_e32 v8, v41, v39
	v_add_f32_e32 v5, v41, v39
	v_fma_f32 v4, -0.5, v4, v10
	scratch_load_b32 v10, off, off offset:504 ; 4-byte Folded Reload
	v_add_f32_e32 v3, v11, v41
	v_sub_f32_e32 v9, v40, v38
	v_fma_f32 v5, -0.5, v5, v11
	v_fmamk_f32 v6, v8, 0xbf5db3d7, v4
	v_fmac_f32_e32 v4, 0x3f5db3d7, v8
	scratch_load_b32 v8, off, off offset:520 ; 4-byte Folded Reload
	v_dual_add_f32 v2, v2, v38 :: v_dual_add_f32 v3, v3, v39
	v_fmamk_f32 v7, v9, 0x3f5db3d7, v5
	v_fmac_f32_e32 v5, 0xbf5db3d7, v9
	v_sub_f32_e32 v9, v32, v30
	s_waitcnt vmcnt(1)
	ds_store_2addr_b64 v10, v[2:3], v[6:7] offset1:9
	ds_store_b64 v10, v[4:5] offset:144
	v_dual_add_f32 v2, v34, v36 :: v_dual_add_f32 v3, v12, v34
	v_add_f32_e32 v4, v13, v35
	v_dual_sub_f32 v6, v35, v37 :: v_dual_sub_f32 v7, v34, v36
	s_delay_alu instid0(VALU_DEP_3) | instskip(NEXT) | instid1(VALU_DEP_3)
	v_fma_f32 v12, -0.5, v2, v12
	v_dual_add_f32 v2, v3, v36 :: v_dual_add_f32 v3, v4, v37
	v_add_f32_e32 v4, v35, v37
	scratch_load_b32 v10, off, off offset:524 ; 4-byte Folded Reload
	v_dual_fmac_f32 v13, -0.5, v4 :: v_dual_fmamk_f32 v4, v6, 0xbf5db3d7, v12
	s_delay_alu instid0(VALU_DEP_1)
	v_dual_fmac_f32 v12, 0x3f5db3d7, v6 :: v_dual_fmamk_f32 v5, v7, 0x3f5db3d7, v13
	v_fmac_f32_e32 v13, 0xbf5db3d7, v7
	s_waitcnt vmcnt(1)
	ds_store_2addr_b64 v8, v[2:3], v[4:5] offset1:9
	v_add_f32_e32 v4, v32, v30
	ds_store_b64 v8, v[12:13] offset:144
	v_sub_f32_e32 v8, v33, v31
	v_dual_add_f32 v5, v33, v31 :: v_dual_add_f32 v2, v14, v32
	v_fma_f32 v4, -0.5, v4, v14
	v_add_f32_e32 v3, v15, v33
	s_delay_alu instid0(VALU_DEP_3) | instskip(NEXT) | instid1(VALU_DEP_4)
	v_fma_f32 v5, -0.5, v5, v15
	v_add_f32_e32 v2, v2, v30
	s_delay_alu instid0(VALU_DEP_4)
	v_fmamk_f32 v6, v8, 0xbf5db3d7, v4
	v_fmac_f32_e32 v4, 0x3f5db3d7, v8
	scratch_load_b32 v8, off, off offset:528 ; 4-byte Folded Reload
	v_add_f32_e32 v3, v3, v31
	v_fmamk_f32 v7, v9, 0x3f5db3d7, v5
	v_fmac_f32_e32 v5, 0xbf5db3d7, v9
	s_waitcnt vmcnt(1)
	ds_store_2addr_b64 v10, v[2:3], v[6:7] offset1:9
	ds_store_b64 v10, v[4:5] offset:144
	v_dual_add_f32 v2, v26, v28 :: v_dual_add_f32 v3, v16, v26
	v_add_f32_e32 v4, v17, v27
	v_dual_sub_f32 v6, v27, v29 :: v_dual_sub_f32 v7, v26, v28
	s_delay_alu instid0(VALU_DEP_3) | instskip(NEXT) | instid1(VALU_DEP_3)
	v_fma_f32 v16, -0.5, v2, v16
	v_dual_add_f32 v2, v3, v28 :: v_dual_add_f32 v3, v4, v29
	v_add_f32_e32 v4, v27, v29
	s_delay_alu instid0(VALU_DEP_1) | instskip(SKIP_1) | instid1(VALU_DEP_2)
	v_dual_fmac_f32 v17, -0.5, v4 :: v_dual_fmamk_f32 v4, v6, 0xbf5db3d7, v16
	v_fmac_f32_e32 v16, 0x3f5db3d7, v6
	v_dual_sub_f32 v6, v25, v23 :: v_dual_fmamk_f32 v5, v7, 0x3f5db3d7, v17
	v_fmac_f32_e32 v17, 0xbf5db3d7, v7
	v_sub_f32_e32 v7, v24, v22
	s_waitcnt vmcnt(0)
	ds_store_2addr_b64 v8, v[2:3], v[4:5] offset1:9
	ds_store_b64 v8, v[16:17] offset:144
	scratch_load_b32 v8, off, off offset:532 ; 4-byte Folded Reload
	v_add_f32_e32 v2, v24, v22
	v_dual_add_f32 v3, v0, v24 :: v_dual_add_f32 v4, v1, v25
	s_delay_alu instid0(VALU_DEP_2) | instskip(NEXT) | instid1(VALU_DEP_2)
	v_fma_f32 v0, -0.5, v2, v0
	v_dual_add_f32 v2, v3, v22 :: v_dual_add_f32 v3, v4, v23
	v_add_f32_e32 v4, v25, v23
	v_mov_b32_e32 v236, v69
	v_mov_b32_e32 v69, v49
	s_delay_alu instid0(VALU_DEP_3) | instskip(NEXT) | instid1(VALU_DEP_1)
	v_dual_fmac_f32 v1, -0.5, v4 :: v_dual_fmamk_f32 v4, v6, 0xbf5db3d7, v0
	v_dual_fmac_f32 v0, 0x3f5db3d7, v6 :: v_dual_fmamk_f32 v5, v7, 0x3f5db3d7, v1
	v_fmac_f32_e32 v1, 0xbf5db3d7, v7
	s_waitcnt vmcnt(0)
	ds_store_2addr_b64 v8, v[2:3], v[4:5] offset1:9
	ds_store_b64 v8, v[0:1] offset:144
	s_waitcnt lgkmcnt(0)
	s_barrier
	buffer_gl0_inv
	ds_load_b64 v[0:1], v64 offset:50544
	s_waitcnt lgkmcnt(0)
	v_mul_f32_e32 v22, v123, v1
	s_delay_alu instid0(VALU_DEP_1) | instskip(SKIP_1) | instid1(VALU_DEP_1)
	v_fmac_f32_e32 v22, v122, v0
	v_mul_f32_e32 v0, v123, v0
	v_fma_f32 v23, v122, v1, -v0
	ds_load_2addr_b64 v[0:3], v78 offset1:243
	s_waitcnt lgkmcnt(0)
	v_mul_f32_e32 v24, v121, v3
	s_delay_alu instid0(VALU_DEP_1) | instskip(SKIP_2) | instid1(VALU_DEP_2)
	v_fmac_f32_e32 v24, v120, v2
	v_mul_f32_e32 v26, v117, v1
	v_mul_f32_e32 v2, v121, v2
	v_fmac_f32_e32 v26, v116, v0
	v_mul_f32_e32 v0, v117, v0
	s_delay_alu instid0(VALU_DEP_3) | instskip(NEXT) | instid1(VALU_DEP_2)
	v_fma_f32 v25, v120, v3, -v2
	v_fma_f32 v27, v116, v1, -v0
	ds_load_2addr_b64 v[0:3], v50 offset0:8 offset1:251
	s_waitcnt lgkmcnt(0)
	v_mul_f32_e32 v28, v119, v3
	v_mul_f32_e32 v30, v115, v1
	s_delay_alu instid0(VALU_DEP_2) | instskip(SKIP_1) | instid1(VALU_DEP_3)
	v_fmac_f32_e32 v28, v118, v2
	v_mul_f32_e32 v2, v119, v2
	v_fmac_f32_e32 v30, v114, v0
	v_mul_f32_e32 v0, v115, v0
	s_delay_alu instid0(VALU_DEP_3) | instskip(NEXT) | instid1(VALU_DEP_2)
	v_fma_f32 v29, v118, v3, -v2
	v_fma_f32 v31, v114, v1, -v0
	ds_load_2addr_b64 v[0:3], v254 offset0:10 offset1:253
	s_waitcnt lgkmcnt(0)
	v_mul_f32_e32 v32, v113, v3
	v_mul_f32_e32 v34, v101, v1
	s_delay_alu instid0(VALU_DEP_2) | instskip(SKIP_1) | instid1(VALU_DEP_3)
	v_fmac_f32_e32 v32, v112, v2
	;; [unrolled: 12-line block ×6, first 2 shown]
	v_mul_f32_e32 v2, v81, v2
	v_fmac_f32_e32 v54, v71, v0
	v_mul_f32_e32 v0, v72, v0
	s_delay_alu instid0(VALU_DEP_3) | instskip(NEXT) | instid1(VALU_DEP_2)
	v_fma_f32 v53, v80, v3, -v2
	v_fma_f32 v48, v71, v1, -v0
	ds_load_2addr_b64 v[0:3], v75 offset0:6 offset1:249
	s_waitcnt lgkmcnt(0)
	v_dual_mul_f32 v49, v74, v3 :: v_dual_mul_f32 v6, v240, v1
	s_delay_alu instid0(VALU_DEP_1) | instskip(SKIP_1) | instid1(VALU_DEP_3)
	v_fmac_f32_e32 v49, v73, v2
	v_mul_f32_e32 v2, v74, v2
	v_fmac_f32_e32 v6, v239, v0
	v_mul_f32_e32 v0, v240, v0
	s_delay_alu instid0(VALU_DEP_3) | instskip(NEXT) | instid1(VALU_DEP_2)
	v_fma_f32 v50, v73, v3, -v2
	v_fma_f32 v7, v239, v1, -v0
	ds_load_2addr_b64 v[0:3], v90 offset0:8 offset1:251
	s_waitcnt lgkmcnt(0)
	v_mul_f32_e32 v8, v238, v3
	s_delay_alu instid0(VALU_DEP_1) | instskip(SKIP_1) | instid1(VALU_DEP_2)
	v_fmac_f32_e32 v8, v237, v2
	v_mul_f32_e32 v2, v238, v2
	v_sub_f32_e32 v55, v8, v6
	s_delay_alu instid0(VALU_DEP_2) | instskip(SKIP_4) | instid1(VALU_DEP_1)
	v_fma_f32 v9, v237, v3, -v2
	ds_load_2addr_b64 v[2:5], v64 offset1:243
	v_sub_f32_e32 v51, v9, v7
	s_waitcnt lgkmcnt(0)
	v_dual_add_f32 v11, v3, v9 :: v_dual_add_f32 v10, v2, v8
	v_add_f32_e32 v19, v11, v7
	v_add_f32_e32 v7, v9, v7
	;; [unrolled: 1-line block ×3, first 2 shown]
	s_delay_alu instid0(VALU_DEP_4) | instskip(NEXT) | instid1(VALU_DEP_3)
	v_add_f32_e32 v18, v10, v6
	v_fma_f32 v3, -0.5, v7, v3
	s_delay_alu instid0(VALU_DEP_3)
	v_fma_f32 v2, -0.5, v9, v2
	ds_load_2addr_b64 v[6:9], v89 offset0:6 offset1:249
	ds_load_2addr_b64 v[10:13], v236 offset0:12 offset1:255
	ds_load_2addr_b64 v[14:17], v69 offset0:2 offset1:245
	s_waitcnt lgkmcnt(0)
	s_barrier
	buffer_gl0_inv
	scratch_load_b32 v56, off, off offset:540 ; 4-byte Folded Reload
	v_fmamk_f32 v20, v51, 0xbf5db3d7, v2
	v_dual_fmamk_f32 v21, v55, 0x3f5db3d7, v3 :: v_dual_fmac_f32 v2, 0x3f5db3d7, v51
	v_fmac_f32_e32 v3, 0xbf5db3d7, v55
	s_waitcnt vmcnt(0)
	ds_store_2addr_b64 v56, v[18:19], v[20:21] offset1:27
	ds_store_b64 v56, v[2:3] offset:432
	v_dual_add_f32 v2, v54, v49 :: v_dual_add_f32 v3, v4, v54
	v_add_f32_e32 v18, v5, v48
	v_dual_sub_f32 v20, v48, v50 :: v_dual_sub_f32 v21, v54, v49
	s_delay_alu instid0(VALU_DEP_3) | instskip(NEXT) | instid1(VALU_DEP_3)
	v_fma_f32 v4, -0.5, v2, v4
	v_dual_add_f32 v2, v3, v49 :: v_dual_add_f32 v3, v18, v50
	v_add_f32_e32 v18, v48, v50
	scratch_load_b32 v48, off, off offset:544 ; 4-byte Folded Reload
	v_dual_fmac_f32 v5, -0.5, v18 :: v_dual_fmamk_f32 v18, v20, 0xbf5db3d7, v4
	v_fmac_f32_e32 v4, 0x3f5db3d7, v20
	scratch_load_b32 v20, off, off offset:548 ; 4-byte Folded Reload
	v_fmamk_f32 v19, v21, 0x3f5db3d7, v5
	v_fmac_f32_e32 v5, 0xbf5db3d7, v21
	s_waitcnt vmcnt(1)
	ds_store_b64 v48, v[4:5] offset:432
	v_add_f32_e32 v4, v52, v46
	ds_store_2addr_b64 v48, v[2:3], v[18:19] offset1:27
	v_sub_f32_e32 v18, v53, v47
	v_dual_add_f32 v2, v6, v52 :: v_dual_add_f32 v5, v53, v47
	v_fma_f32 v4, -0.5, v4, v6
	v_add_f32_e32 v3, v7, v53
	v_sub_f32_e32 v19, v52, v46
	s_delay_alu instid0(VALU_DEP_4)
	v_add_f32_e32 v2, v2, v46
	v_fma_f32 v5, -0.5, v5, v7
	v_fmamk_f32 v6, v18, 0xbf5db3d7, v4
	v_fmac_f32_e32 v4, 0x3f5db3d7, v18
	scratch_load_b32 v18, off, off offset:552 ; 4-byte Folded Reload
	v_add_f32_e32 v3, v3, v47
	v_fmamk_f32 v7, v19, 0x3f5db3d7, v5
	v_fmac_f32_e32 v5, 0xbf5db3d7, v19
	s_waitcnt vmcnt(1)
	ds_store_2addr_b64 v20, v[2:3], v[6:7] offset1:27
	ds_store_b64 v20, v[4:5] offset:432
	v_dual_add_f32 v2, v42, v44 :: v_dual_add_f32 v3, v8, v42
	v_add_f32_e32 v4, v9, v43
	v_dual_sub_f32 v6, v43, v45 :: v_dual_sub_f32 v7, v42, v44
	s_delay_alu instid0(VALU_DEP_3) | instskip(NEXT) | instid1(VALU_DEP_3)
	v_fma_f32 v8, -0.5, v2, v8
	v_dual_add_f32 v2, v3, v44 :: v_dual_add_f32 v3, v4, v45
	v_add_f32_e32 v4, v43, v45
	s_delay_alu instid0(VALU_DEP_1) | instskip(NEXT) | instid1(VALU_DEP_1)
	v_dual_fmac_f32 v9, -0.5, v4 :: v_dual_fmamk_f32 v4, v6, 0xbf5db3d7, v8
	v_dual_fmac_f32 v8, 0x3f5db3d7, v6 :: v_dual_fmamk_f32 v5, v7, 0x3f5db3d7, v9
	v_fmac_f32_e32 v9, 0xbf5db3d7, v7
	s_waitcnt vmcnt(0)
	ds_store_2addr_b64 v18, v[2:3], v[4:5] offset1:27
	v_add_f32_e32 v4, v40, v38
	v_add_f32_e32 v2, v10, v40
	ds_store_b64 v18, v[8:9] offset:432
	v_sub_f32_e32 v8, v41, v39
	v_add_f32_e32 v5, v41, v39
	v_fma_f32 v4, -0.5, v4, v10
	scratch_load_b32 v10, off, off offset:556 ; 4-byte Folded Reload
	v_add_f32_e32 v3, v11, v41
	v_sub_f32_e32 v9, v40, v38
	v_fma_f32 v5, -0.5, v5, v11
	v_fmamk_f32 v6, v8, 0xbf5db3d7, v4
	v_fmac_f32_e32 v4, 0x3f5db3d7, v8
	scratch_load_b32 v8, off, off offset:560 ; 4-byte Folded Reload
	v_dual_add_f32 v2, v2, v38 :: v_dual_add_f32 v3, v3, v39
	v_fmamk_f32 v7, v9, 0x3f5db3d7, v5
	v_fmac_f32_e32 v5, 0xbf5db3d7, v9
	v_sub_f32_e32 v9, v32, v30
	s_waitcnt vmcnt(1)
	ds_store_2addr_b64 v10, v[2:3], v[6:7] offset1:27
	ds_store_b64 v10, v[4:5] offset:432
	v_dual_add_f32 v2, v34, v36 :: v_dual_add_f32 v3, v12, v34
	v_add_f32_e32 v4, v13, v35
	v_dual_sub_f32 v6, v35, v37 :: v_dual_sub_f32 v7, v34, v36
	s_delay_alu instid0(VALU_DEP_3) | instskip(NEXT) | instid1(VALU_DEP_3)
	v_fma_f32 v12, -0.5, v2, v12
	v_dual_add_f32 v2, v3, v36 :: v_dual_add_f32 v3, v4, v37
	v_add_f32_e32 v4, v35, v37
	scratch_load_b32 v10, off, off offset:564 ; 4-byte Folded Reload
	v_dual_fmac_f32 v13, -0.5, v4 :: v_dual_fmamk_f32 v4, v6, 0xbf5db3d7, v12
	s_delay_alu instid0(VALU_DEP_1)
	v_dual_fmac_f32 v12, 0x3f5db3d7, v6 :: v_dual_fmamk_f32 v5, v7, 0x3f5db3d7, v13
	v_fmac_f32_e32 v13, 0xbf5db3d7, v7
	s_waitcnt vmcnt(1)
	ds_store_2addr_b64 v8, v[2:3], v[4:5] offset1:27
	v_add_f32_e32 v4, v32, v30
	ds_store_b64 v8, v[12:13] offset:432
	v_sub_f32_e32 v8, v33, v31
	v_dual_add_f32 v5, v33, v31 :: v_dual_add_f32 v2, v14, v32
	v_fma_f32 v4, -0.5, v4, v14
	v_add_f32_e32 v3, v15, v33
	s_delay_alu instid0(VALU_DEP_3) | instskip(NEXT) | instid1(VALU_DEP_4)
	v_fma_f32 v5, -0.5, v5, v15
	v_add_f32_e32 v2, v2, v30
	s_delay_alu instid0(VALU_DEP_4)
	v_fmamk_f32 v6, v8, 0xbf5db3d7, v4
	v_fmac_f32_e32 v4, 0x3f5db3d7, v8
	scratch_load_b32 v8, off, off offset:536 ; 4-byte Folded Reload
	v_add_f32_e32 v3, v3, v31
	v_fmamk_f32 v7, v9, 0x3f5db3d7, v5
	v_fmac_f32_e32 v5, 0xbf5db3d7, v9
	s_waitcnt vmcnt(1)
	ds_store_2addr_b64 v10, v[2:3], v[6:7] offset1:27
	ds_store_b64 v10, v[4:5] offset:432
	v_dual_add_f32 v2, v26, v28 :: v_dual_add_f32 v5, v27, v29
	v_add_f32_e32 v4, v16, v26
	v_dual_sub_f32 v6, v27, v29 :: v_dual_sub_f32 v7, v26, v28
	s_delay_alu instid0(VALU_DEP_3) | instskip(NEXT) | instid1(VALU_DEP_4)
	v_fma_f32 v16, -0.5, v2, v16
	v_dual_add_f32 v2, v17, v27 :: v_dual_fmac_f32 v17, -0.5, v5
	s_delay_alu instid0(VALU_DEP_1) | instskip(NEXT) | instid1(VALU_DEP_3)
	v_dual_add_f32 v3, v2, v29 :: v_dual_add_f32 v2, v4, v28
	v_fmamk_f32 v4, v6, 0xbf5db3d7, v16
	s_delay_alu instid0(VALU_DEP_3)
	v_dual_fmamk_f32 v5, v7, 0x3f5db3d7, v17 :: v_dual_fmac_f32 v16, 0x3f5db3d7, v6
	v_fmac_f32_e32 v17, 0xbf5db3d7, v7
	v_sub_f32_e32 v6, v25, v23
	s_waitcnt vmcnt(0)
	ds_store_2addr_b64 v8, v[2:3], v[4:5] offset1:27
	ds_store_b64 v8, v[16:17] offset:432
	scratch_load_b32 v8, off, off offset:568 ; 4-byte Folded Reload
	v_add_f32_e32 v3, v1, v25
	s_delay_alu instid0(VALU_DEP_1) | instskip(SKIP_2) | instid1(VALU_DEP_3)
	v_dual_add_f32 v3, v3, v23 :: v_dual_add_f32 v2, v24, v22
	v_add_f32_e32 v4, v0, v24
	v_sub_f32_e32 v7, v24, v22
	v_fma_f32 v0, -0.5, v2, v0
	v_add_f32_e32 v2, v25, v23
	s_delay_alu instid0(VALU_DEP_1) | instskip(SKIP_1) | instid1(VALU_DEP_4)
	v_fmac_f32_e32 v1, -0.5, v2
	v_add_f32_e32 v2, v4, v22
	v_fmamk_f32 v4, v6, 0xbf5db3d7, v0
	s_delay_alu instid0(VALU_DEP_3)
	v_dual_fmac_f32 v0, 0x3f5db3d7, v6 :: v_dual_fmamk_f32 v5, v7, 0x3f5db3d7, v1
	v_fmac_f32_e32 v1, 0xbf5db3d7, v7
	s_waitcnt vmcnt(0)
	ds_store_2addr_b64 v8, v[2:3], v[4:5] offset1:27
	ds_store_b64 v8, v[0:1] offset:432
	s_waitcnt lgkmcnt(0)
	s_barrier
	buffer_gl0_inv
	ds_load_b64 v[1:2], v64 offset:50544
	ds_load_2addr_b64 v[4:7], v78 offset1:243
	s_waitcnt lgkmcnt(1)
	v_mul_f32_e32 v0, v159, v2
	s_waitcnt lgkmcnt(0)
	v_mul_f32_e32 v26, v145, v5
	s_delay_alu instid0(VALU_DEP_2) | instskip(NEXT) | instid1(VALU_DEP_2)
	v_dual_mul_f32 v3, v157, v6 :: v_dual_fmac_f32 v0, v158, v1
	v_dual_mul_f32 v1, v159, v1 :: v_dual_fmac_f32 v26, v144, v4
	v_mul_f32_e32 v4, v145, v4
	s_delay_alu instid0(VALU_DEP_3) | instskip(NEXT) | instid1(VALU_DEP_3)
	v_fma_f32 v3, v156, v7, -v3
	v_fma_f32 v2, v158, v2, -v1
	v_mul_f32_e32 v1, v157, v7
	s_delay_alu instid0(VALU_DEP_4) | instskip(NEXT) | instid1(VALU_DEP_2)
	v_fma_f32 v27, v144, v5, -v4
	v_fmac_f32_e32 v1, v156, v6
	ds_load_2addr_b64 v[4:7], v65 offset0:8 offset1:251
	s_waitcnt lgkmcnt(0)
	v_mul_f32_e32 v28, v147, v7
	v_mul_f32_e32 v30, v143, v5
	s_delay_alu instid0(VALU_DEP_2) | instskip(SKIP_1) | instid1(VALU_DEP_3)
	v_fmac_f32_e32 v28, v146, v6
	v_mul_f32_e32 v6, v147, v6
	v_fmac_f32_e32 v30, v142, v4
	v_mul_f32_e32 v4, v143, v4
	s_delay_alu instid0(VALU_DEP_3) | instskip(NEXT) | instid1(VALU_DEP_2)
	v_fma_f32 v29, v146, v7, -v6
	v_fma_f32 v31, v142, v5, -v4
	ds_load_2addr_b64 v[4:7], v254 offset0:10 offset1:253
	s_waitcnt lgkmcnt(0)
	v_mul_f32_e32 v32, v141, v7
	v_mul_f32_e32 v34, v129, v5
	s_delay_alu instid0(VALU_DEP_2) | instskip(SKIP_1) | instid1(VALU_DEP_3)
	v_fmac_f32_e32 v32, v140, v6
	v_mul_f32_e32 v6, v141, v6
	v_fmac_f32_e32 v34, v128, v4
	v_mul_f32_e32 v4, v129, v4
	s_delay_alu instid0(VALU_DEP_3) | instskip(NEXT) | instid1(VALU_DEP_2)
	v_fma_f32 v33, v140, v7, -v6
	v_fma_f32 v35, v128, v5, -v4
	;; [unrolled: 12-line block ×7, first 2 shown]
	ds_load_2addr_b64 v[4:7], v90 offset0:8 offset1:251
	s_waitcnt lgkmcnt(0)
	v_mul_f32_e32 v12, v61, v7
	s_delay_alu instid0(VALU_DEP_1) | instskip(SKIP_1) | instid1(VALU_DEP_2)
	v_fmac_f32_e32 v12, v60, v6
	v_mul_f32_e32 v6, v61, v6
	v_sub_f32_e32 v55, v12, v10
	s_delay_alu instid0(VALU_DEP_2)
	v_fma_f32 v13, v60, v7, -v6
	ds_load_2addr_b64 v[6:9], v64 offset1:243
	v_add_f32_e32 v15, v13, v11
	v_sub_f32_e32 v54, v13, v11
	s_waitcnt lgkmcnt(0)
	v_add_f32_e32 v14, v7, v13
	s_delay_alu instid0(VALU_DEP_3) | instskip(NEXT) | instid1(VALU_DEP_2)
	v_fma_f32 v7, -0.5, v15, v7
	v_add_f32_e32 v23, v14, v11
	v_add_f32_e32 v11, v6, v12
	s_delay_alu instid0(VALU_DEP_3) | instskip(NEXT) | instid1(VALU_DEP_2)
	v_fmamk_f32 v25, v55, 0x3f5db3d7, v7
	v_dual_fmac_f32 v7, 0xbf5db3d7, v55 :: v_dual_add_f32 v22, v11, v10
	v_add_f32_e32 v11, v12, v10
	s_delay_alu instid0(VALU_DEP_1)
	v_fma_f32 v6, -0.5, v11, v6
	ds_load_2addr_b64 v[10:13], v89 offset0:6 offset1:249
	ds_load_2addr_b64 v[14:17], v236 offset0:12 offset1:255
	;; [unrolled: 1-line block ×3, first 2 shown]
	s_waitcnt lgkmcnt(0)
	s_barrier
	buffer_gl0_inv
	scratch_load_b32 v56, off, off offset:604 ; 4-byte Folded Reload
	v_fmamk_f32 v24, v54, 0xbf5db3d7, v6
	v_fmac_f32_e32 v6, 0x3f5db3d7, v54
	s_waitcnt vmcnt(0)
	ds_store_2addr_b64 v56, v[22:23], v[24:25] offset1:81
	ds_store_b64 v56, v[6:7] offset:1296
	v_add_f32_e32 v6, v50, v52
	v_dual_add_f32 v22, v8, v50 :: v_dual_sub_f32 v25, v50, v52
	scratch_load_b32 v50, off, off offset:572 ; 4-byte Folded Reload
	v_add_f32_e32 v7, v9, v51
	v_fma_f32 v8, -0.5, v6, v8
	v_add_f32_e32 v6, v51, v53
	v_sub_f32_e32 v24, v51, v53
	s_delay_alu instid0(VALU_DEP_4) | instskip(NEXT) | instid1(VALU_DEP_3)
	v_add_f32_e32 v7, v7, v53
	v_dual_fmac_f32 v9, -0.5, v6 :: v_dual_add_f32 v6, v22, v52
	s_delay_alu instid0(VALU_DEP_3)
	v_fmamk_f32 v22, v24, 0xbf5db3d7, v8
	v_fmac_f32_e32 v8, 0x3f5db3d7, v24
	scratch_load_b32 v24, off, off offset:576 ; 4-byte Folded Reload
	v_fmamk_f32 v23, v25, 0x3f5db3d7, v9
	v_fmac_f32_e32 v9, 0xbf5db3d7, v25
	s_waitcnt vmcnt(1)
	ds_store_b64 v50, v[8:9] offset:1296
	v_add_f32_e32 v8, v48, v46
	ds_store_2addr_b64 v50, v[6:7], v[22:23] offset1:81
	v_add_f32_e32 v6, v11, v49
	v_sub_f32_e32 v22, v49, v47
	v_add_f32_e32 v9, v49, v47
	v_fma_f32 v8, -0.5, v8, v10
	v_sub_f32_e32 v23, v48, v46
	v_add_f32_e32 v7, v6, v47
	v_add_f32_e32 v6, v10, v48
	v_fma_f32 v9, -0.5, v9, v11
	v_fmamk_f32 v10, v22, 0xbf5db3d7, v8
	v_fmac_f32_e32 v8, 0x3f5db3d7, v22
	scratch_load_b32 v22, off, off offset:580 ; 4-byte Folded Reload
	v_dual_add_f32 v6, v6, v46 :: v_dual_fmamk_f32 v11, v23, 0x3f5db3d7, v9
	v_fmac_f32_e32 v9, 0xbf5db3d7, v23
	s_waitcnt vmcnt(1)
	ds_store_2addr_b64 v24, v[6:7], v[10:11] offset1:81
	ds_store_b64 v24, v[8:9] offset:1296
	v_dual_add_f32 v6, v42, v44 :: v_dual_add_f32 v9, v43, v45
	v_add_f32_e32 v8, v12, v42
	v_dual_sub_f32 v10, v43, v45 :: v_dual_sub_f32 v11, v42, v44
	s_delay_alu instid0(VALU_DEP_3) | instskip(NEXT) | instid1(VALU_DEP_4)
	v_fma_f32 v12, -0.5, v6, v12
	v_dual_add_f32 v6, v13, v43 :: v_dual_fmac_f32 v13, -0.5, v9
	s_delay_alu instid0(VALU_DEP_1) | instskip(NEXT) | instid1(VALU_DEP_3)
	v_dual_add_f32 v7, v6, v45 :: v_dual_add_f32 v6, v8, v44
	v_fmamk_f32 v8, v10, 0xbf5db3d7, v12
	s_delay_alu instid0(VALU_DEP_3)
	v_dual_fmamk_f32 v9, v11, 0x3f5db3d7, v13 :: v_dual_fmac_f32 v12, 0x3f5db3d7, v10
	v_fmac_f32_e32 v13, 0xbf5db3d7, v11
	s_waitcnt vmcnt(0)
	ds_store_2addr_b64 v22, v[6:7], v[8:9] offset1:81
	v_add_f32_e32 v8, v40, v38
	v_add_f32_e32 v6, v14, v40
	ds_store_b64 v22, v[12:13] offset:1296
	v_sub_f32_e32 v12, v41, v39
	v_add_f32_e32 v9, v41, v39
	v_fma_f32 v8, -0.5, v8, v14
	scratch_load_b32 v14, off, off offset:584 ; 4-byte Folded Reload
	v_add_f32_e32 v7, v15, v41
	v_sub_f32_e32 v13, v40, v38
	v_fma_f32 v9, -0.5, v9, v15
	v_fmamk_f32 v10, v12, 0xbf5db3d7, v8
	v_fmac_f32_e32 v8, 0x3f5db3d7, v12
	scratch_load_b32 v12, off, off offset:588 ; 4-byte Folded Reload
	v_dual_add_f32 v6, v6, v38 :: v_dual_add_f32 v7, v7, v39
	v_fmamk_f32 v11, v13, 0x3f5db3d7, v9
	v_fmac_f32_e32 v9, 0xbf5db3d7, v13
	v_sub_f32_e32 v13, v32, v30
	s_waitcnt vmcnt(1)
	ds_store_2addr_b64 v14, v[6:7], v[10:11] offset1:81
	ds_store_b64 v14, v[8:9] offset:1296
	v_dual_add_f32 v6, v34, v36 :: v_dual_add_f32 v9, v35, v37
	v_add_f32_e32 v8, v16, v34
	v_dual_sub_f32 v10, v35, v37 :: v_dual_sub_f32 v11, v34, v36
	s_delay_alu instid0(VALU_DEP_3) | instskip(NEXT) | instid1(VALU_DEP_4)
	v_fma_f32 v16, -0.5, v6, v16
	v_dual_add_f32 v6, v17, v35 :: v_dual_fmac_f32 v17, -0.5, v9
	scratch_load_b32 v14, off, off offset:592 ; 4-byte Folded Reload
	v_dual_add_f32 v7, v6, v37 :: v_dual_add_f32 v6, v8, v36
	v_fmamk_f32 v8, v10, 0xbf5db3d7, v16
	v_dual_fmamk_f32 v9, v11, 0x3f5db3d7, v17 :: v_dual_fmac_f32 v16, 0x3f5db3d7, v10
	v_fmac_f32_e32 v17, 0xbf5db3d7, v11
	s_waitcnt vmcnt(1)
	ds_store_2addr_b64 v12, v[6:7], v[8:9] offset1:81
	v_add_f32_e32 v8, v32, v30
	ds_store_b64 v12, v[16:17] offset:1296
	v_sub_f32_e32 v12, v33, v31
	v_dual_add_f32 v9, v33, v31 :: v_dual_add_f32 v6, v18, v32
	v_fma_f32 v8, -0.5, v8, v18
	v_add_f32_e32 v7, v19, v33
	s_delay_alu instid0(VALU_DEP_3) | instskip(NEXT) | instid1(VALU_DEP_4)
	v_fma_f32 v9, -0.5, v9, v19
	v_add_f32_e32 v6, v6, v30
	s_delay_alu instid0(VALU_DEP_4)
	v_fmamk_f32 v10, v12, 0xbf5db3d7, v8
	v_fmac_f32_e32 v8, 0x3f5db3d7, v12
	scratch_load_b32 v12, off, off offset:596 ; 4-byte Folded Reload
	v_add_f32_e32 v7, v7, v31
	v_fmamk_f32 v11, v13, 0x3f5db3d7, v9
	v_fmac_f32_e32 v9, 0xbf5db3d7, v13
	s_waitcnt vmcnt(1)
	ds_store_2addr_b64 v14, v[6:7], v[10:11] offset1:81
	ds_store_b64 v14, v[8:9] offset:1296
	v_dual_add_f32 v6, v26, v28 :: v_dual_add_f32 v9, v27, v29
	v_add_f32_e32 v8, v20, v26
	v_dual_sub_f32 v10, v27, v29 :: v_dual_sub_f32 v11, v26, v28
	s_delay_alu instid0(VALU_DEP_3) | instskip(NEXT) | instid1(VALU_DEP_4)
	v_fma_f32 v20, -0.5, v6, v20
	v_dual_add_f32 v6, v21, v27 :: v_dual_fmac_f32 v21, -0.5, v9
	s_delay_alu instid0(VALU_DEP_1) | instskip(NEXT) | instid1(VALU_DEP_3)
	v_dual_add_f32 v7, v6, v29 :: v_dual_add_f32 v6, v8, v28
	v_fmamk_f32 v8, v10, 0xbf5db3d7, v20
	s_delay_alu instid0(VALU_DEP_3)
	v_dual_fmamk_f32 v9, v11, 0x3f5db3d7, v21 :: v_dual_fmac_f32 v20, 0x3f5db3d7, v10
	v_fmac_f32_e32 v21, 0xbf5db3d7, v11
	s_waitcnt vmcnt(0)
	ds_store_2addr_b64 v12, v[6:7], v[8:9] offset1:81
	v_dual_add_f32 v6, v1, v0 :: v_dual_add_f32 v7, v4, v1
	v_add_f32_e32 v8, v5, v3
	ds_store_b64 v12, v[20:21] offset:1296
	v_fma_f32 v4, -0.5, v6, v4
	v_dual_add_f32 v6, v7, v0 :: v_dual_add_f32 v7, v8, v2
	v_add_f32_e32 v8, v3, v2
	v_dual_sub_f32 v2, v3, v2 :: v_dual_sub_f32 v3, v1, v0
	s_delay_alu instid0(VALU_DEP_2)
	v_fmac_f32_e32 v5, -0.5, v8
	scratch_load_b32 v8, off, off offset:600 ; 4-byte Folded Reload
	v_fmamk_f32 v0, v2, 0xbf5db3d7, v4
	v_dual_fmac_f32 v4, 0x3f5db3d7, v2 :: v_dual_fmamk_f32 v1, v3, 0x3f5db3d7, v5
	v_fmac_f32_e32 v5, 0xbf5db3d7, v3
	s_waitcnt vmcnt(0)
	ds_store_2addr_b64 v8, v[6:7], v[0:1] offset1:81
	ds_store_b64 v8, v[4:5] offset:1296
	s_waitcnt lgkmcnt(0)
	s_barrier
	buffer_gl0_inv
	ds_load_b64 v[1:2], v64 offset:50544
	ds_load_2addr_b64 v[5:8], v78 offset1:243
	ds_load_2addr_b64 v[9:12], v65 offset0:8 offset1:251
	s_waitcnt lgkmcnt(1)
	v_dual_mul_f32 v0, v187, v2 :: v_dual_mul_f32 v3, v185, v7
	v_mul_f32_e32 v4, v181, v6
	s_delay_alu instid0(VALU_DEP_2) | instskip(SKIP_1) | instid1(VALU_DEP_4)
	v_fmac_f32_e32 v0, v186, v1
	v_mul_f32_e32 v1, v187, v1
	v_fma_f32 v3, v184, v8, -v3
	s_delay_alu instid0(VALU_DEP_4) | instskip(SKIP_1) | instid1(VALU_DEP_4)
	v_fmac_f32_e32 v4, v180, v5
	v_mul_f32_e32 v5, v181, v5
	v_fma_f32 v2, v186, v2, -v1
	s_waitcnt lgkmcnt(0)
	v_dual_mul_f32 v1, v185, v8 :: v_dual_mul_f32 v8, v179, v10
	s_delay_alu instid0(VALU_DEP_3) | instskip(SKIP_1) | instid1(VALU_DEP_3)
	v_fma_f32 v6, v180, v6, -v5
	v_mul_f32_e32 v5, v183, v12
	v_fmac_f32_e32 v1, v184, v7
	s_delay_alu instid0(VALU_DEP_4) | instskip(SKIP_1) | instid1(VALU_DEP_4)
	v_dual_mul_f32 v7, v183, v11 :: v_dual_fmac_f32 v8, v178, v9
	v_mul_f32_e32 v9, v179, v9
	v_fmac_f32_e32 v5, v182, v11
	s_delay_alu instid0(VALU_DEP_3) | instskip(NEXT) | instid1(VALU_DEP_3)
	v_fma_f32 v7, v182, v12, -v7
	v_fma_f32 v31, v178, v10, -v9
	ds_load_2addr_b64 v[9:12], v254 offset0:10 offset1:253
	s_waitcnt lgkmcnt(0)
	v_mul_f32_e32 v32, v177, v12
	v_mul_f32_e32 v34, v173, v10
	s_delay_alu instid0(VALU_DEP_2) | instskip(NEXT) | instid1(VALU_DEP_2)
	v_fmac_f32_e32 v32, v176, v11
	v_dual_mul_f32 v11, v177, v11 :: v_dual_fmac_f32 v34, v172, v9
	v_mul_f32_e32 v9, v173, v9
	s_delay_alu instid0(VALU_DEP_2) | instskip(NEXT) | instid1(VALU_DEP_2)
	v_fma_f32 v33, v176, v12, -v11
	v_fma_f32 v35, v172, v10, -v9
	ds_load_2addr_b64 v[9:12], v67 offset0:2 offset1:245
	s_waitcnt lgkmcnt(0)
	v_mul_f32_e32 v36, v175, v12
	v_mul_f32_e32 v38, v171, v10
	s_delay_alu instid0(VALU_DEP_2) | instskip(NEXT) | instid1(VALU_DEP_2)
	v_fmac_f32_e32 v36, v174, v11
	v_dual_mul_f32 v11, v175, v11 :: v_dual_fmac_f32 v38, v170, v9
	v_mul_f32_e32 v9, v171, v9
	s_delay_alu instid0(VALU_DEP_2) | instskip(NEXT) | instid1(VALU_DEP_2)
	;; [unrolled: 11-line block ×5, first 2 shown]
	v_fma_f32 v49, v152, v12, -v11
	v_fma_f32 v51, v148, v10, -v9
	ds_load_2addr_b64 v[9:12], v75 offset0:6 offset1:249
	s_waitcnt lgkmcnt(0)
	v_mul_f32_e32 v15, v151, v10
	s_delay_alu instid0(VALU_DEP_1) | instskip(NEXT) | instid1(VALU_DEP_1)
	v_dual_mul_f32 v52, v151, v12 :: v_dual_fmac_f32 v15, v150, v9
	v_dual_mul_f32 v9, v151, v9 :: v_dual_fmac_f32 v52, v150, v11
	s_delay_alu instid0(VALU_DEP_1) | instskip(SKIP_1) | instid1(VALU_DEP_1)
	v_fma_f32 v16, v150, v10, -v9
	v_mul_f32_e32 v9, v151, v11
	v_fma_f32 v53, v150, v12, -v9
	ds_load_2addr_b64 v[9:12], v90 offset0:8 offset1:251
	s_waitcnt lgkmcnt(0)
	v_mul_f32_e32 v17, v149, v12
	s_delay_alu instid0(VALU_DEP_1) | instskip(SKIP_1) | instid1(VALU_DEP_2)
	v_fmac_f32_e32 v17, v148, v11
	v_mul_f32_e32 v11, v149, v11
	v_sub_f32_e32 v55, v17, v15
	s_delay_alu instid0(VALU_DEP_2) | instskip(SKIP_4) | instid1(VALU_DEP_2)
	v_fma_f32 v18, v148, v12, -v11
	ds_load_2addr_b64 v[11:14], v64 offset1:243
	v_add_f32_e32 v20, v18, v16
	s_waitcnt lgkmcnt(0)
	v_dual_sub_f32 v54, v18, v16 :: v_dual_add_f32 v19, v12, v18
	v_fma_f32 v12, -0.5, v20, v12
	s_delay_alu instid0(VALU_DEP_2) | instskip(SKIP_1) | instid1(VALU_DEP_3)
	v_add_f32_e32 v28, v19, v16
	v_add_f32_e32 v16, v11, v17
	v_fmamk_f32 v30, v55, 0x3f5db3d7, v12
	v_fmac_f32_e32 v12, 0xbf5db3d7, v55
	s_delay_alu instid0(VALU_DEP_3) | instskip(SKIP_1) | instid1(VALU_DEP_1)
	v_add_f32_e32 v27, v16, v15
	v_add_f32_e32 v16, v17, v15
	v_fma_f32 v11, -0.5, v16, v11
	ds_load_2addr_b64 v[15:18], v89 offset0:6 offset1:249
	ds_load_2addr_b64 v[19:22], v236 offset0:12 offset1:255
	;; [unrolled: 1-line block ×3, first 2 shown]
	s_waitcnt lgkmcnt(0)
	s_barrier
	buffer_gl0_inv
	v_fmamk_f32 v29, v54, 0xbf5db3d7, v11
	v_fmac_f32_e32 v11, 0x3f5db3d7, v54
	ds_store_2addr_b64 v64, v[27:28], v[29:30] offset1:243
	scratch_load_b32 v29, off, off offset:608 ; 4-byte Folded Reload
	v_dual_add_f32 v27, v13, v50 :: v_dual_add_f32 v28, v14, v51
	v_sub_f32_e32 v30, v42, v44
	s_delay_alu instid0(VALU_DEP_2) | instskip(SKIP_3) | instid1(VALU_DEP_2)
	v_dual_add_f32 v27, v27, v52 :: v_dual_add_f32 v28, v28, v53
	ds_store_2addr_b64 v89, v[11:12], v[27:28] offset0:6 offset1:249
	v_dual_add_f32 v11, v50, v52 :: v_dual_sub_f32 v12, v51, v53
	v_dual_sub_f32 v27, v50, v52 :: v_dual_sub_f32 v28, v48, v46
	v_fma_f32 v13, -0.5, v11, v13
	v_add_f32_e32 v11, v51, v53
	s_delay_alu instid0(VALU_DEP_1) | instskip(NEXT) | instid1(VALU_DEP_1)
	v_dual_fmac_f32 v14, -0.5, v11 :: v_dual_fmamk_f32 v11, v12, 0xbf5db3d7, v13
	v_dual_fmac_f32 v13, 0x3f5db3d7, v12 :: v_dual_fmamk_f32 v12, v27, 0x3f5db3d7, v14
	v_fmac_f32_e32 v14, 0xbf5db3d7, v27
	v_sub_f32_e32 v27, v49, v47
	ds_store_2addr_b64 v236, v[11:12], v[13:14] offset0:12 offset1:255
	v_dual_add_f32 v11, v16, v49 :: v_dual_add_f32 v14, v49, v47
	s_delay_alu instid0(VALU_DEP_1) | instskip(SKIP_1) | instid1(VALU_DEP_2)
	v_dual_add_f32 v13, v48, v46 :: v_dual_add_f32 v12, v11, v47
	v_add_f32_e32 v11, v15, v48
	v_fma_f32 v13, -0.5, v13, v15
	s_delay_alu instid0(VALU_DEP_4) | instskip(NEXT) | instid1(VALU_DEP_3)
	v_fma_f32 v14, -0.5, v14, v16
	v_add_f32_e32 v11, v11, v46
	s_delay_alu instid0(VALU_DEP_3) | instskip(NEXT) | instid1(VALU_DEP_3)
	v_fmamk_f32 v15, v27, 0xbf5db3d7, v13
	v_dual_fmamk_f32 v16, v28, 0x3f5db3d7, v14 :: v_dual_fmac_f32 v13, 0x3f5db3d7, v27
	v_fmac_f32_e32 v14, 0xbf5db3d7, v28
	s_waitcnt vmcnt(0)
	ds_store_2addr_b64 v29, v[11:12], v[15:16] offset0:2 offset1:245
	v_add_f32_e32 v11, v42, v44
	v_add_f32_e32 v15, v17, v42
	scratch_load_b32 v42, off, off offset:612 ; 4-byte Folded Reload
	v_add_f32_e32 v16, v43, v45
	v_sub_f32_e32 v29, v43, v45
	v_fma_f32 v17, -0.5, v11, v17
	s_delay_alu instid0(VALU_DEP_3) | instskip(NEXT) | instid1(VALU_DEP_1)
	v_dual_add_f32 v11, v18, v43 :: v_dual_fmac_f32 v18, -0.5, v16
	v_add_f32_e32 v12, v11, v45
	v_add_f32_e32 v11, v15, v44
	s_delay_alu instid0(VALU_DEP_4) | instskip(NEXT) | instid1(VALU_DEP_4)
	v_fmamk_f32 v15, v29, 0xbf5db3d7, v17
	v_dual_fmamk_f32 v16, v30, 0x3f5db3d7, v18 :: v_dual_fmac_f32 v17, 0x3f5db3d7, v29
	v_fmac_f32_e32 v18, 0xbf5db3d7, v30
	s_waitcnt vmcnt(0)
	ds_store_2addr_b64 v42, v[11:12], v[15:16] offset0:11 offset1:254
	v_dual_add_f32 v11, v20, v41 :: v_dual_add_f32 v16, v41, v39
	v_sub_f32_e32 v41, v41, v39
	s_delay_alu instid0(VALU_DEP_2) | instskip(SKIP_4) | instid1(VALU_DEP_3)
	v_dual_add_f32 v15, v40, v38 :: v_dual_add_f32 v12, v11, v39
	scratch_load_b32 v39, off, off offset:616 ; 4-byte Folded Reload
	v_add_f32_e32 v11, v19, v40
	v_fma_f32 v15, -0.5, v15, v19
	v_fma_f32 v16, -0.5, v16, v20
	v_add_f32_e32 v11, v11, v38
	s_delay_alu instid0(VALU_DEP_3) | instskip(NEXT) | instid1(VALU_DEP_1)
	v_dual_sub_f32 v38, v40, v38 :: v_dual_fmamk_f32 v19, v41, 0xbf5db3d7, v15
	v_dual_fmac_f32 v15, 0x3f5db3d7, v41 :: v_dual_fmamk_f32 v20, v38, 0x3f5db3d7, v16
	v_fmac_f32_e32 v16, 0xbf5db3d7, v38
	s_waitcnt vmcnt(0)
	ds_store_2addr_b64 v39, v[11:12], v[19:20] offset0:4 offset1:247
	v_add_f32_e32 v11, v34, v36
	v_dual_add_f32 v19, v21, v34 :: v_dual_sub_f32 v34, v34, v36
	v_add_f32_e32 v20, v35, v37
	s_delay_alu instid0(VALU_DEP_3) | instskip(SKIP_1) | instid1(VALU_DEP_3)
	v_fma_f32 v21, -0.5, v11, v21
	v_add_f32_e32 v11, v22, v35
	v_dual_sub_f32 v35, v35, v37 :: v_dual_fmac_f32 v22, -0.5, v20
	s_delay_alu instid0(VALU_DEP_2)
	v_add_f32_e32 v12, v11, v37
	v_add_f32_e32 v11, v19, v36
	scratch_load_b32 v36, off, off offset:620 ; 4-byte Folded Reload
	v_fmamk_f32 v19, v35, 0xbf5db3d7, v21
	v_dual_fmamk_f32 v20, v34, 0x3f5db3d7, v22 :: v_dual_fmac_f32 v21, 0x3f5db3d7, v35
	v_fmac_f32_e32 v22, 0xbf5db3d7, v34
	s_waitcnt vmcnt(0)
	ds_store_2addr_b64 v36, v[11:12], v[19:20] offset0:5 offset1:248
	scratch_load_b32 v11, off, off offset:624 ; 4-byte Folded Reload
	s_waitcnt vmcnt(0)
	ds_store_b64 v11, v[17:18] offset:21384
	scratch_load_b32 v11, off, off offset:628 ; 4-byte Folded Reload
	v_dual_add_f32 v18, v33, v31 :: v_dual_add_f32 v17, v32, v8
	s_delay_alu instid0(VALU_DEP_1) | instskip(NEXT) | instid1(VALU_DEP_2)
	v_fma_f32 v18, -0.5, v18, v24
	v_fma_f32 v17, -0.5, v17, v23
	s_waitcnt vmcnt(0)
	ds_store_b64 v11, v[21:22] offset:33048
	scratch_load_b32 v22, off, off offset:632 ; 4-byte Folded Reload
	v_add_f32_e32 v11, v24, v33
	v_sub_f32_e32 v21, v33, v31
	s_delay_alu instid0(VALU_DEP_2) | instskip(SKIP_1) | instid1(VALU_DEP_3)
	v_add_f32_e32 v12, v11, v31
	v_add_f32_e32 v11, v23, v32
	v_fmamk_f32 v19, v21, 0xbf5db3d7, v17
	v_fmac_f32_e32 v17, 0x3f5db3d7, v21
	s_delay_alu instid0(VALU_DEP_3) | instskip(SKIP_1) | instid1(VALU_DEP_1)
	v_add_f32_e32 v11, v11, v8
	v_sub_f32_e32 v8, v32, v8
	v_fmamk_f32 v20, v8, 0x3f5db3d7, v18
	v_fmac_f32_e32 v18, 0xbf5db3d7, v8
	s_waitcnt vmcnt(0)
	ds_store_2addr_b64 v22, v[11:12], v[19:20] offset0:6 offset1:249
	v_dual_add_f32 v11, v4, v5 :: v_dual_add_f32 v12, v25, v4
	v_add_f32_e32 v19, v6, v7
	v_sub_f32_e32 v20, v6, v7
	s_delay_alu instid0(VALU_DEP_3) | instskip(NEXT) | instid1(VALU_DEP_4)
	v_fma_f32 v25, -0.5, v11, v25
	v_dual_add_f32 v11, v26, v6 :: v_dual_add_f32 v6, v12, v5
	scratch_load_b32 v12, off, off offset:636 ; 4-byte Folded Reload
	v_fmac_f32_e32 v26, -0.5, v19
	v_add_f32_e32 v7, v11, v7
	v_sub_f32_e32 v11, v4, v5
	v_fmamk_f32 v4, v20, 0xbf5db3d7, v25
	v_fmac_f32_e32 v25, 0x3f5db3d7, v20
	s_delay_alu instid0(VALU_DEP_3)
	v_fmamk_f32 v5, v11, 0x3f5db3d7, v26
	v_fmac_f32_e32 v26, 0xbf5db3d7, v11
	s_waitcnt vmcnt(0)
	ds_store_2addr_b64 v12, v[6:7], v[4:5] offset0:7 offset1:250
	v_add_f32_e32 v4, v1, v0
	v_dual_add_f32 v5, v9, v1 :: v_dual_add_f32 v6, v10, v3
	s_delay_alu instid0(VALU_DEP_2) | instskip(SKIP_1) | instid1(VALU_DEP_1)
	v_fma_f32 v9, -0.5, v4, v9
	v_add_f32_e32 v4, v3, v2
	v_fmac_f32_e32 v10, -0.5, v4
	v_sub_f32_e32 v4, v3, v2
	v_add_f32_e32 v3, v6, v2
	scratch_load_b32 v6, off, off offset:660 ; 4-byte Folded Reload
	v_add_f32_e32 v2, v5, v0
	v_dual_sub_f32 v5, v1, v0 :: v_dual_fmamk_f32 v0, v4, 0xbf5db3d7, v9
	v_fmac_f32_e32 v9, 0x3f5db3d7, v4
	s_delay_alu instid0(VALU_DEP_2)
	v_fmamk_f32 v1, v5, 0x3f5db3d7, v10
	v_fmac_f32_e32 v10, 0xbf5db3d7, v5
	s_waitcnt vmcnt(0)
	ds_store_2addr_b64 v6, v[2:3], v[0:1] offset0:8 offset1:251
	scratch_load_b32 v0, off, off offset:652 ; 4-byte Folded Reload
	s_waitcnt vmcnt(0)
	ds_store_b64 v0, v[25:26] offset:44712
	scratch_load_b32 v0, off, off offset:656 ; 4-byte Folded Reload
	s_waitcnt vmcnt(0)
	ds_store_b64 v0, v[9:10] offset:50544
	scratch_load_b32 v0, off, off offset:640 ; 4-byte Folded Reload
	s_waitcnt vmcnt(0)
	ds_store_b64 v0, v[13:14] offset:15552
	scratch_load_b32 v0, off, off offset:644 ; 4-byte Folded Reload
	s_waitcnt vmcnt(0)
	ds_store_b64 v0, v[15:16] offset:27216
	scratch_load_b32 v0, off, off offset:648 ; 4-byte Folded Reload
	s_waitcnt vmcnt(0)
	ds_store_b64 v0, v[17:18] offset:38880
	s_waitcnt lgkmcnt(0)
	s_barrier
	buffer_gl0_inv
	ds_load_2addr_b64 v[0:3], v75 offset0:6 offset1:249
	ds_load_2addr_b64 v[5:8], v78 offset1:243
	ds_load_2addr_b64 v[11:14], v67 offset0:2 offset1:245
	s_waitcnt lgkmcnt(2)
	v_mul_f32_e32 v15, v135, v1
	s_waitcnt lgkmcnt(1)
	v_dual_mul_f32 v29, v139, v3 :: v_dual_mul_f32 v4, v225, v6
	s_waitcnt lgkmcnt(0)
	v_mul_f32_e32 v44, v163, v14
	v_mul_f32_e32 v46, v139, v12
	v_fmac_f32_e32 v15, v134, v0
	v_dual_mul_f32 v0, v135, v0 :: v_dual_fmac_f32 v29, v138, v2
	v_fmac_f32_e32 v4, v224, v5
	v_mul_f32_e32 v5, v225, v5
	v_fmac_f32_e32 v44, v162, v13
	s_delay_alu instid0(VALU_DEP_4) | instskip(SKIP_3) | instid1(VALU_DEP_3)
	v_fma_f32 v16, v134, v1, -v0
	v_mul_f32_e32 v0, v139, v2
	v_fmac_f32_e32 v46, v138, v11
	v_fma_f32 v5, v224, v6, -v5
	v_fma_f32 v30, v138, v3, -v0
	ds_load_2addr_b64 v[0:3], v77 offset0:6 offset1:249
	s_waitcnt lgkmcnt(0)
	v_mul_f32_e32 v31, v137, v1
	v_mul_f32_e32 v33, v161, v3
	s_delay_alu instid0(VALU_DEP_2) | instskip(NEXT) | instid1(VALU_DEP_2)
	v_fmac_f32_e32 v31, v136, v0
	v_dual_mul_f32 v0, v137, v0 :: v_dual_fmac_f32 v33, v160, v2
	s_delay_alu instid0(VALU_DEP_1) | instskip(SKIP_4) | instid1(VALU_DEP_1)
	v_fma_f32 v32, v136, v1, -v0
	v_mul_f32_e32 v0, v161, v2
	ds_load_b64 v[1:2], v64 offset:50544
	v_fma_f32 v34, v160, v3, -v0
	v_mul_f32_e32 v3, v229, v7
	v_fma_f32 v3, v228, v8, -v3
	s_waitcnt lgkmcnt(0)
	v_mul_f32_e32 v0, v231, v2
	s_delay_alu instid0(VALU_DEP_1) | instskip(SKIP_1) | instid1(VALU_DEP_1)
	v_fmac_f32_e32 v0, v230, v1
	v_mul_f32_e32 v1, v231, v1
	v_fma_f32 v2, v230, v2, -v1
	v_mul_f32_e32 v1, v229, v8
	s_delay_alu instid0(VALU_DEP_1) | instskip(SKIP_4) | instid1(VALU_DEP_2)
	v_fmac_f32_e32 v1, v228, v7
	ds_load_2addr_b64 v[7:10], v65 offset0:8 offset1:251
	s_waitcnt lgkmcnt(0)
	v_mul_f32_e32 v6, v227, v10
	v_mul_f32_e32 v36, v195, v8
	v_fmac_f32_e32 v6, v226, v9
	s_delay_alu instid0(VALU_DEP_2) | instskip(SKIP_1) | instid1(VALU_DEP_2)
	v_dual_mul_f32 v9, v227, v9 :: v_dual_fmac_f32 v36, v194, v7
	v_mul_f32_e32 v7, v195, v7
	v_fma_f32 v35, v226, v10, -v9
	s_delay_alu instid0(VALU_DEP_2) | instskip(SKIP_4) | instid1(VALU_DEP_2)
	v_fma_f32 v37, v194, v8, -v7
	ds_load_2addr_b64 v[7:10], v254 offset0:10 offset1:253
	s_waitcnt lgkmcnt(0)
	v_mul_f32_e32 v38, v193, v10
	v_mul_f32_e32 v40, v161, v8
	v_fmac_f32_e32 v38, v192, v9
	s_delay_alu instid0(VALU_DEP_2) | instskip(SKIP_1) | instid1(VALU_DEP_2)
	v_dual_mul_f32 v9, v193, v9 :: v_dual_fmac_f32 v40, v160, v7
	v_mul_f32_e32 v7, v161, v7
	v_fma_f32 v39, v192, v10, -v9
	s_delay_alu instid0(VALU_DEP_2) | instskip(SKIP_4) | instid1(VALU_DEP_2)
	v_fma_f32 v41, v160, v8, -v7
	ds_load_2addr_b64 v[7:10], v68 offset0:12 offset1:255
	s_waitcnt lgkmcnt(0)
	v_mul_f32_e32 v42, v163, v8
	v_mul_f32_e32 v52, v135, v10
	v_fmac_f32_e32 v42, v162, v7
	s_delay_alu instid0(VALU_DEP_2) | instskip(NEXT) | instid1(VALU_DEP_1)
	v_dual_mul_f32 v7, v163, v7 :: v_dual_fmac_f32 v52, v134, v9
	v_fma_f32 v43, v162, v8, -v7
	v_mul_f32_e32 v7, v163, v13
	s_delay_alu instid0(VALU_DEP_1) | instskip(SKIP_1) | instid1(VALU_DEP_1)
	v_fma_f32 v45, v162, v14, -v7
	v_mul_f32_e32 v7, v139, v11
	v_fma_f32 v47, v138, v12, -v7
	ds_load_2addr_b64 v[11:14], v253 offset0:4 offset1:247
	s_waitcnt lgkmcnt(0)
	v_mul_f32_e32 v7, v137, v13
	v_mul_f32_e32 v48, v137, v14
	v_mul_f32_e32 v50, v133, v12
	s_delay_alu instid0(VALU_DEP_3) | instskip(NEXT) | instid1(VALU_DEP_3)
	v_fma_f32 v49, v136, v14, -v7
	v_dual_mul_f32 v7, v133, v11 :: v_dual_fmac_f32 v48, v136, v13
	s_delay_alu instid0(VALU_DEP_3) | instskip(NEXT) | instid1(VALU_DEP_2)
	v_fmac_f32_e32 v50, v132, v11
	v_fma_f32 v51, v132, v12, -v7
	v_mul_f32_e32 v7, v135, v9
	s_delay_alu instid0(VALU_DEP_1) | instskip(SKIP_3) | instid1(VALU_DEP_1)
	v_fma_f32 v53, v134, v10, -v7
	ds_load_2addr_b64 v[7:10], v90 offset0:8 offset1:251
	s_waitcnt lgkmcnt(0)
	v_mul_f32_e32 v13, v133, v10
	v_fmac_f32_e32 v13, v132, v9
	v_mul_f32_e32 v9, v133, v9
	s_delay_alu instid0(VALU_DEP_1)
	v_fma_f32 v14, v132, v10, -v9
	ds_load_2addr_b64 v[9:12], v64 offset1:243
	v_add_f32_e32 v18, v14, v16
	s_waitcnt lgkmcnt(0)
	v_add_f32_e32 v17, v10, v14
	v_sub_f32_e32 v14, v14, v16
	s_delay_alu instid0(VALU_DEP_3) | instskip(NEXT) | instid1(VALU_DEP_3)
	v_fma_f32 v10, -0.5, v18, v10
	v_add_f32_e32 v26, v17, v16
	v_add_f32_e32 v16, v9, v13
	s_delay_alu instid0(VALU_DEP_1) | instskip(SKIP_2) | instid1(VALU_DEP_2)
	v_add_f32_e32 v25, v16, v15
	v_add_f32_e32 v16, v13, v15
	v_sub_f32_e32 v13, v13, v15
	v_fma_f32 v9, -0.5, v16, v9
	s_delay_alu instid0(VALU_DEP_2) | instskip(NEXT) | instid1(VALU_DEP_2)
	v_fmamk_f32 v28, v13, 0x3f5db3d7, v10
	v_dual_fmac_f32 v10, 0xbf5db3d7, v13 :: v_dual_fmamk_f32 v27, v14, 0xbf5db3d7, v9
	v_fmac_f32_e32 v9, 0x3f5db3d7, v14
	ds_load_2addr_b64 v[13:16], v89 offset0:6 offset1:249
	ds_load_2addr_b64 v[17:20], v236 offset0:12 offset1:255
	;; [unrolled: 1-line block ×3, first 2 shown]
	s_waitcnt lgkmcnt(0)
	s_barrier
	buffer_gl0_inv
	ds_store_b64 v64, v[27:28] offset:5832
	ds_store_b64 v64, v[9:10] offset:11664
	v_dual_add_f32 v9, v11, v31 :: v_dual_add_f32 v10, v12, v32
	s_delay_alu instid0(VALU_DEP_1) | instskip(SKIP_4) | instid1(VALU_DEP_3)
	v_dual_add_f32 v9, v9, v29 :: v_dual_add_f32 v10, v10, v30
	ds_store_2addr_b64 v64, v[25:26], v[9:10] offset1:243
	v_dual_add_f32 v9, v31, v29 :: v_dual_sub_f32 v10, v32, v30
	v_dual_sub_f32 v25, v31, v29 :: v_dual_add_f32 v26, v14, v34
	v_add_f32_e32 v27, v15, v50
	v_fma_f32 v11, -0.5, v9, v11
	v_add_f32_e32 v9, v32, v30
	v_add_f32_e32 v28, v16, v51
	v_dual_add_f32 v26, v26, v43 :: v_dual_add_f32 v29, v19, v40
	v_add_f32_e32 v30, v20, v41
	s_delay_alu instid0(VALU_DEP_4) | instskip(SKIP_2) | instid1(VALU_DEP_3)
	v_dual_fmac_f32 v12, -0.5, v9 :: v_dual_fmamk_f32 v9, v10, 0xbf5db3d7, v11
	v_fmac_f32_e32 v11, 0x3f5db3d7, v10
	v_dual_sub_f32 v31, v41, v45 :: v_dual_sub_f32 v32, v40, v44
	v_fmamk_f32 v10, v25, 0x3f5db3d7, v12
	v_fmac_f32_e32 v12, 0xbf5db3d7, v25
	v_add_f32_e32 v25, v13, v33
	s_delay_alu instid0(VALU_DEP_1)
	v_add_f32_e32 v25, v25, v42
	ds_store_b64 v64, v[11:12] offset:13608
	ds_store_b64 v64, v[25:26] offset:3888
	v_dual_add_f32 v12, v34, v43 :: v_dual_add_f32 v11, v33, v42
	v_dual_sub_f32 v25, v34, v43 :: v_dual_sub_f32 v26, v33, v42
	v_sub_f32_e32 v33, v48, v46
	s_delay_alu instid0(VALU_DEP_3) | instskip(NEXT) | instid1(VALU_DEP_4)
	v_fma_f32 v12, -0.5, v12, v14
	v_fma_f32 v11, -0.5, v11, v13
	s_delay_alu instid0(VALU_DEP_2) | instskip(NEXT) | instid1(VALU_DEP_2)
	v_fmamk_f32 v14, v26, 0x3f5db3d7, v12
	v_fmamk_f32 v13, v25, 0xbf5db3d7, v11
	v_fmac_f32_e32 v11, 0x3f5db3d7, v25
	v_fmac_f32_e32 v12, 0xbf5db3d7, v26
	ds_store_2addr_b64 v236, v[9:10], v[13:14] offset0:12 offset1:255
	v_dual_add_f32 v9, v50, v52 :: v_dual_sub_f32 v10, v51, v53
	v_sub_f32_e32 v13, v50, v52
	s_delay_alu instid0(VALU_DEP_2) | instskip(SKIP_1) | instid1(VALU_DEP_1)
	v_fma_f32 v15, -0.5, v9, v15
	v_add_f32_e32 v9, v51, v53
	v_dual_fmac_f32 v16, -0.5, v9 :: v_dual_fmamk_f32 v9, v10, 0xbf5db3d7, v15
	s_delay_alu instid0(VALU_DEP_1) | instskip(SKIP_1) | instid1(VALU_DEP_1)
	v_dual_fmac_f32 v15, 0x3f5db3d7, v10 :: v_dual_fmamk_f32 v10, v13, 0x3f5db3d7, v16
	v_dual_fmac_f32 v16, 0xbf5db3d7, v13 :: v_dual_add_f32 v13, v40, v44
	v_fma_f32 v19, -0.5, v13, v19
	v_add_f32_e32 v13, v41, v45
	s_delay_alu instid0(VALU_DEP_1) | instskip(NEXT) | instid1(VALU_DEP_1)
	v_dual_fmac_f32 v20, -0.5, v13 :: v_dual_fmamk_f32 v13, v31, 0xbf5db3d7, v19
	v_dual_fmac_f32 v19, 0x3f5db3d7, v31 :: v_dual_fmamk_f32 v14, v32, 0x3f5db3d7, v20
	v_fmac_f32_e32 v20, 0xbf5db3d7, v32
	ds_store_2addr_b64 v254, v[13:14], v[15:16] offset0:10 offset1:253
	v_dual_add_f32 v13, v48, v46 :: v_dual_add_f32 v14, v49, v47
	v_sub_f32_e32 v16, v49, v47
	s_delay_alu instid0(VALU_DEP_2) | instskip(NEXT) | instid1(VALU_DEP_3)
	v_fma_f32 v13, -0.5, v13, v17
	v_fma_f32 v14, -0.5, v14, v18
	v_dual_add_f32 v17, v17, v48 :: v_dual_add_f32 v18, v18, v49
	s_delay_alu instid0(VALU_DEP_3) | instskip(NEXT) | instid1(VALU_DEP_3)
	v_fmamk_f32 v15, v16, 0xbf5db3d7, v13
	v_dual_fmac_f32 v13, 0x3f5db3d7, v16 :: v_dual_fmamk_f32 v16, v33, 0x3f5db3d7, v14
	v_fmac_f32_e32 v14, 0xbf5db3d7, v33
	ds_store_2addr_b64 v78, v[13:14], v[19:20] offset1:243
	v_dual_add_f32 v13, v27, v52 :: v_dual_add_f32 v14, v28, v53
	ds_store_2addr_b64 v90, v[11:12], v[13:14] offset0:8 offset1:251
	ds_store_2addr_b64 v253, v[9:10], v[15:16] offset0:4 offset1:247
	v_add_f32_e32 v9, v17, v46
	scratch_load_b32 v17, off, off offset:668 ; 4-byte Folded Reload
	v_dual_add_f32 v10, v18, v47 :: v_dual_add_f32 v11, v29, v44
	v_add_f32_e32 v12, v30, v45
	v_dual_sub_f32 v15, v39, v37 :: v_dual_sub_f32 v16, v38, v36
	ds_store_2addr_b64 v77, v[9:10], v[11:12] offset0:6 offset1:249
	v_add_f32_e32 v11, v22, v39
	v_dual_add_f32 v9, v38, v36 :: v_dual_add_f32 v10, v39, v37
	s_delay_alu instid0(VALU_DEP_2) | instskip(NEXT) | instid1(VALU_DEP_2)
	v_dual_add_f32 v12, v11, v37 :: v_dual_add_f32 v11, v21, v38
	v_fma_f32 v9, -0.5, v9, v21
	s_delay_alu instid0(VALU_DEP_3) | instskip(NEXT) | instid1(VALU_DEP_3)
	v_fma_f32 v10, -0.5, v10, v22
	v_add_f32_e32 v11, v11, v36
	s_delay_alu instid0(VALU_DEP_3) | instskip(NEXT) | instid1(VALU_DEP_3)
	v_fmamk_f32 v13, v15, 0xbf5db3d7, v9
	v_fmamk_f32 v14, v16, 0x3f5db3d7, v10
	s_waitcnt vmcnt(0)
	ds_store_b64 v17, v[11:12] offset:34992
	ds_store_b64 v17, v[13:14] offset:40824
	v_fmac_f32_e32 v9, 0x3f5db3d7, v15
	v_fmac_f32_e32 v10, 0xbf5db3d7, v16
	v_dual_add_f32 v11, v23, v4 :: v_dual_add_f32 v12, v24, v5
	scratch_load_b32 v13, off, off offset:672 ; 4-byte Folded Reload
	v_dual_add_f32 v11, v11, v6 :: v_dual_add_f32 v12, v12, v35
	ds_store_b64 v17, v[9:10] offset:46656
	v_add_f32_e32 v9, v4, v6
	v_sub_f32_e32 v6, v4, v6
	v_add_f32_e32 v10, v8, v3
	s_delay_alu instid0(VALU_DEP_3) | instskip(SKIP_1) | instid1(VALU_DEP_3)
	v_fma_f32 v23, -0.5, v9, v23
	v_add_f32_e32 v9, v5, v35
	v_dual_sub_f32 v5, v5, v35 :: v_dual_add_f32 v10, v10, v2
	s_delay_alu instid0(VALU_DEP_2) | instskip(NEXT) | instid1(VALU_DEP_2)
	v_fmac_f32_e32 v24, -0.5, v9
	v_fmamk_f32 v4, v5, 0xbf5db3d7, v23
	v_fmac_f32_e32 v23, 0x3f5db3d7, v5
	s_delay_alu instid0(VALU_DEP_3) | instskip(SKIP_2) | instid1(VALU_DEP_1)
	v_fmamk_f32 v5, v6, 0x3f5db3d7, v24
	v_fmac_f32_e32 v24, 0xbf5db3d7, v6
	v_add_f32_e32 v6, v7, v1
	v_add_f32_e32 v9, v6, v0
	;; [unrolled: 1-line block ×3, first 2 shown]
	s_delay_alu instid0(VALU_DEP_1) | instskip(SKIP_2) | instid1(VALU_DEP_2)
	v_fma_f32 v7, -0.5, v6, v7
	v_add_f32_e32 v6, v3, v2
	v_dual_sub_f32 v2, v3, v2 :: v_dual_sub_f32 v3, v1, v0
	v_fmac_f32_e32 v8, -0.5, v6
	s_delay_alu instid0(VALU_DEP_2)
	v_fmamk_f32 v0, v2, 0xbf5db3d7, v7
	v_fmac_f32_e32 v7, 0x3f5db3d7, v2
	scratch_load_b32 v2, off, off offset:664 ; 4-byte Folded Reload
	v_fmamk_f32 v1, v3, 0x3f5db3d7, v8
	v_fmac_f32_e32 v8, 0xbf5db3d7, v3
	s_waitcnt vmcnt(1)
	ds_store_b64 v13, v[11:12] offset:34992
	ds_store_b64 v13, v[23:24] offset:46656
	s_waitcnt vmcnt(0)
	ds_store_b64 v2, v[7:8] offset:46656
	ds_store_b64 v13, v[4:5] offset:40824
	;; [unrolled: 1-line block ×4, first 2 shown]
	s_waitcnt lgkmcnt(0)
	s_barrier
	buffer_gl0_inv
	ds_load_2addr_b64 v[0:3], v90 offset0:8 offset1:251
	ds_load_2addr_b64 v[10:13], v64 offset1:243
	s_waitcnt lgkmcnt(1)
	v_mul_f32_e32 v14, v201, v3
	s_delay_alu instid0(VALU_DEP_1) | instskip(SKIP_1) | instid1(VALU_DEP_1)
	v_fmac_f32_e32 v14, v200, v2
	v_mul_f32_e32 v2, v201, v2
	v_fma_f32 v15, v200, v3, -v2
	ds_load_2addr_b64 v[2:5], v75 offset0:6 offset1:249
	s_waitcnt lgkmcnt(0)
	v_mul_f32_e32 v16, v203, v3
	v_mul_f32_e32 v48, v199, v5
	s_delay_alu instid0(VALU_DEP_2) | instskip(SKIP_1) | instid1(VALU_DEP_3)
	v_fmac_f32_e32 v16, v202, v2
	v_mul_f32_e32 v2, v203, v2
	v_fmac_f32_e32 v48, v198, v4
	s_delay_alu instid0(VALU_DEP_2) | instskip(SKIP_1) | instid1(VALU_DEP_2)
	v_fma_f32 v17, v202, v3, -v2
	v_mul_f32_e32 v2, v199, v4
	v_add_f32_e32 v18, v15, v17
	s_delay_alu instid0(VALU_DEP_2) | instskip(SKIP_4) | instid1(VALU_DEP_2)
	v_fma_f32 v49, v198, v5, -v2
	ds_load_2addr_b64 v[3:6], v77 offset0:6 offset1:249
	s_waitcnt lgkmcnt(0)
	v_mul_f32_e32 v2, v197, v3
	v_mul_f32_e32 v50, v197, v4
	v_fma_f32 v51, v196, v4, -v2
	v_mul_f32_e32 v4, v233, v6
	v_mul_f32_e32 v2, v233, v5
	s_delay_alu instid0(VALU_DEP_4) | instskip(NEXT) | instid1(VALU_DEP_3)
	v_fmac_f32_e32 v50, v196, v3
	v_fmac_f32_e32 v4, v232, v5
	s_delay_alu instid0(VALU_DEP_3) | instskip(SKIP_4) | instid1(VALU_DEP_2)
	v_fma_f32 v5, v232, v6, -v2
	ds_load_2addr_b64 v[6:9], v68 offset0:12 offset1:255
	s_waitcnt lgkmcnt(0)
	v_mul_f32_e32 v2, v235, v7
	v_mul_f32_e32 v3, v235, v6
	v_fmac_f32_e32 v2, v234, v6
	v_add_f32_e32 v6, v11, v15
	s_delay_alu instid0(VALU_DEP_3) | instskip(SKIP_2) | instid1(VALU_DEP_4)
	v_fma_f32 v3, v234, v7, -v3
	v_sub_f32_e32 v15, v15, v17
	v_fma_f32 v11, -0.5, v18, v11
	v_add_f32_e32 v7, v6, v17
	v_add_f32_e32 v6, v10, v14
	;; [unrolled: 1-line block ×3, first 2 shown]
	s_delay_alu instid0(VALU_DEP_2) | instskip(NEXT) | instid1(VALU_DEP_2)
	v_add_f32_e32 v6, v6, v16
	v_fma_f32 v10, -0.5, v17, v10
	v_sub_f32_e32 v16, v14, v16
	s_delay_alu instid0(VALU_DEP_2) | instskip(NEXT) | instid1(VALU_DEP_2)
	v_fmamk_f32 v14, v15, 0xbf5db3d7, v10
	v_dual_fmac_f32 v10, 0x3f5db3d7, v15 :: v_dual_fmamk_f32 v15, v16, 0x3f5db3d7, v11
	v_fmac_f32_e32 v11, 0xbf5db3d7, v16
	ds_store_b64 v64, v[14:15] offset:17496
	ds_store_b64 v64, v[10:11] offset:34992
	v_dual_add_f32 v10, v12, v50 :: v_dual_add_f32 v11, v13, v51
	ds_load_b64 v[46:47], v64 offset:50544
	ds_load_2addr_b64 v[14:17], v89 offset0:6 offset1:249
	ds_load_2addr_b64 v[18:21], v253 offset0:4 offset1:247
	;; [unrolled: 1-line block ×7, first 2 shown]
	ds_load_2addr_b64 v[42:45], v78 offset1:243
	v_dual_add_f32 v10, v10, v48 :: v_dual_add_f32 v11, v11, v49
	ds_store_2addr_b64 v64, v[6:7], v[10:11] offset1:243
	v_dual_add_f32 v6, v50, v48 :: v_dual_sub_f32 v7, v51, v49
	v_dual_sub_f32 v10, v50, v48 :: v_dual_add_f32 v11, v5, v3
	v_sub_f32_e32 v50, v4, v2
	s_delay_alu instid0(VALU_DEP_3) | instskip(SKIP_4) | instid1(VALU_DEP_2)
	v_fma_f32 v12, -0.5, v6, v12
	v_dual_add_f32 v6, v51, v49 :: v_dual_sub_f32 v49, v5, v3
	s_waitcnt lgkmcnt(8)
	v_fma_f32 v11, -0.5, v11, v15
	s_waitcnt lgkmcnt(7)
	v_dual_mul_f32 v52, v209, v21 :: v_dual_fmac_f32 v13, -0.5, v6
	v_fmamk_f32 v6, v7, 0xbf5db3d7, v12
	v_fmac_f32_e32 v12, 0x3f5db3d7, v7
	s_delay_alu instid0(VALU_DEP_3) | instskip(SKIP_2) | instid1(VALU_DEP_1)
	v_dual_fmac_f32 v52, v208, v20 :: v_dual_fmamk_f32 v7, v10, 0x3f5db3d7, v13
	v_fmac_f32_e32 v13, 0xbf5db3d7, v10
	v_add_f32_e32 v10, v4, v2
	v_fma_f32 v10, -0.5, v10, v14
	s_delay_alu instid0(VALU_DEP_1)
	v_fmamk_f32 v48, v49, 0xbf5db3d7, v10
	v_dual_fmac_f32 v10, 0x3f5db3d7, v49 :: v_dual_fmamk_f32 v49, v50, 0x3f5db3d7, v11
	v_fmac_f32_e32 v11, 0xbf5db3d7, v50
	v_add_nc_u32_e32 v50, 0x9000, v64
	ds_store_2addr_b64 v77, v[6:7], v[48:49] offset0:6 offset1:249
	ds_store_2addr_b64 v50, v[12:13], v[10:11] offset0:9 offset1:252
	v_mul_f32_e32 v50, v191, v9
	v_mul_f32_e32 v12, v189, v19
	s_waitcnt lgkmcnt(3)
	v_mul_f32_e32 v11, v221, v45
	v_mul_f32_e32 v10, v221, v44
	v_fmac_f32_e32 v50, v190, v8
	v_mul_f32_e32 v8, v191, v8
	v_fmac_f32_e32 v12, v188, v18
	v_fmac_f32_e32 v11, v220, v44
	v_fma_f32 v10, v220, v45, -v10
	s_delay_alu instid0(VALU_DEP_4) | instskip(SKIP_3) | instid1(VALU_DEP_3)
	v_fma_f32 v51, v190, v9, -v8
	v_mul_f32_e32 v8, v189, v18
	v_dual_mul_f32 v9, v213, v43 :: v_dual_mul_f32 v18, v223, v46
	v_add_f32_e32 v45, v0, v11
	v_fma_f32 v13, v188, v19, -v8
	s_delay_alu instid0(VALU_DEP_3) | instskip(NEXT) | instid1(VALU_DEP_1)
	v_dual_mul_f32 v8, v209, v20 :: v_dual_fmac_f32 v9, v212, v42
	v_fma_f32 v20, v208, v21, -v8
	v_mul_f32_e32 v21, v211, v27
	v_mul_f32_e32 v8, v211, v26
	s_delay_alu instid0(VALU_DEP_2) | instskip(NEXT) | instid1(VALU_DEP_2)
	v_fmac_f32_e32 v21, v210, v26
	v_fma_f32 v26, v210, v27, -v8
	v_mul_f32_e32 v27, v207, v29
	s_delay_alu instid0(VALU_DEP_2) | instskip(NEXT) | instid1(VALU_DEP_2)
	v_dual_mul_f32 v8, v207, v28 :: v_dual_sub_f32 v19, v20, v26
	v_fmac_f32_e32 v27, v206, v28
	s_delay_alu instid0(VALU_DEP_2) | instskip(SKIP_2) | instid1(VALU_DEP_2)
	v_fma_f32 v28, v206, v29, -v8
	v_mul_f32_e32 v29, v205, v31
	v_mul_f32_e32 v8, v205, v30
	v_fmac_f32_e32 v29, v204, v30
	s_delay_alu instid0(VALU_DEP_2) | instskip(SKIP_2) | instid1(VALU_DEP_3)
	v_fma_f32 v30, v204, v31, -v8
	v_mul_f32_e32 v31, v217, v33
	v_mul_f32_e32 v8, v217, v32
	v_add_f32_e32 v53, v25, v30
	s_delay_alu instid0(VALU_DEP_3) | instskip(NEXT) | instid1(VALU_DEP_3)
	v_fmac_f32_e32 v31, v216, v32
	v_fma_f32 v32, v216, v33, -v8
	v_mul_f32_e32 v33, v219, v39
	v_mul_f32_e32 v8, v219, v38
	s_delay_alu instid0(VALU_DEP_2) | instskip(NEXT) | instid1(VALU_DEP_2)
	v_fmac_f32_e32 v33, v218, v38
	v_fma_f32 v38, v218, v39, -v8
	v_mul_f32_e32 v39, v215, v41
	v_mul_f32_e32 v8, v215, v40
	s_delay_alu instid0(VALU_DEP_2) | instskip(NEXT) | instid1(VALU_DEP_2)
	v_fmac_f32_e32 v39, v214, v40
	v_fma_f32 v40, v214, v41, -v8
	v_mul_f32_e32 v8, v213, v42
	v_fma_f32 v42, v222, v47, -v18
	v_mul_f32_e32 v41, v223, v47
	v_dual_add_f32 v18, v9, v39 :: v_dual_sub_f32 v47, v52, v21
	s_delay_alu instid0(VALU_DEP_4) | instskip(SKIP_1) | instid1(VALU_DEP_4)
	v_fma_f32 v8, v212, v43, -v8
	v_add_f32_e32 v43, v36, v9
	v_fmac_f32_e32 v41, v222, v46
	s_delay_alu instid0(VALU_DEP_4) | instskip(SKIP_2) | instid1(VALU_DEP_1)
	v_fma_f32 v36, -0.5, v18, v36
	v_add_f32_e32 v46, v1, v10
	v_add_f32_e32 v18, v8, v40
	v_dual_add_f32 v44, v37, v8 :: v_dual_fmac_f32 v37, -0.5, v18
	v_sub_f32_e32 v18, v8, v40
	s_delay_alu instid0(VALU_DEP_1) | instskip(SKIP_2) | instid1(VALU_DEP_1)
	v_fmamk_f32 v8, v18, 0xbf5db3d7, v36
	v_fmac_f32_e32 v36, 0x3f5db3d7, v18
	v_sub_f32_e32 v18, v9, v39
	v_fmamk_f32 v9, v18, 0x3f5db3d7, v37
	v_dual_fmac_f32 v37, 0xbf5db3d7, v18 :: v_dual_add_f32 v18, v11, v41
	s_delay_alu instid0(VALU_DEP_1) | instskip(SKIP_1) | instid1(VALU_DEP_1)
	v_fma_f32 v0, -0.5, v18, v0
	v_add_f32_e32 v18, v10, v42
	v_fmac_f32_e32 v1, -0.5, v18
	v_sub_f32_e32 v18, v10, v42
	s_delay_alu instid0(VALU_DEP_1) | instskip(SKIP_2) | instid1(VALU_DEP_1)
	v_fmamk_f32 v10, v18, 0xbf5db3d7, v0
	v_fmac_f32_e32 v0, 0x3f5db3d7, v18
	v_sub_f32_e32 v18, v11, v41
	v_fmamk_f32 v11, v18, 0x3f5db3d7, v1
	v_fmac_f32_e32 v1, 0xbf5db3d7, v18
	v_add_nc_u32_e32 v18, 0xbd80, v64
	ds_store_2addr_b64 v18, v[36:37], v[0:1] offset0:11 offset1:254
	v_add_f32_e32 v0, v12, v50
	v_dual_add_f32 v36, v16, v12 :: v_dual_add_f32 v37, v17, v13
	v_dual_sub_f32 v1, v13, v51 :: v_dual_sub_f32 v12, v12, v50
	s_delay_alu instid0(VALU_DEP_3) | instskip(SKIP_1) | instid1(VALU_DEP_4)
	v_fma_f32 v16, -0.5, v0, v16
	v_dual_add_f32 v0, v13, v51 :: v_dual_add_f32 v13, v20, v26
	v_dual_add_f32 v6, v36, v50 :: v_dual_add_f32 v7, v37, v51
	s_delay_alu instid0(VALU_DEP_2) | instskip(SKIP_1) | instid1(VALU_DEP_4)
	v_dual_fmac_f32 v17, -0.5, v0 :: v_dual_fmamk_f32 v0, v1, 0xbf5db3d7, v16
	v_fmac_f32_e32 v16, 0x3f5db3d7, v1
	v_fma_f32 v13, -0.5, v13, v23
	s_delay_alu instid0(VALU_DEP_3) | instskip(SKIP_1) | instid1(VALU_DEP_1)
	v_fmamk_f32 v1, v12, 0x3f5db3d7, v17
	v_dual_fmac_f32 v17, 0xbf5db3d7, v12 :: v_dual_add_f32 v12, v52, v21
	v_fma_f32 v12, -0.5, v12, v22
	s_delay_alu instid0(VALU_DEP_1)
	v_fmamk_f32 v18, v19, 0xbf5db3d7, v12
	v_dual_fmac_f32 v12, 0x3f5db3d7, v19 :: v_dual_fmamk_f32 v19, v47, 0x3f5db3d7, v13
	v_fmac_f32_e32 v13, 0xbf5db3d7, v47
	v_add_nc_u32_e32 v47, 0x9f40, v64
	ds_store_2addr_b64 v47, v[16:17], v[12:13] offset0:7 offset1:250
	v_add_f32_e32 v16, v14, v4
	v_dual_add_f32 v4, v29, v27 :: v_dual_add_f32 v47, v24, v29
	v_add_f32_e32 v17, v15, v5
	v_dual_sub_f32 v5, v30, v28 :: v_dual_sub_f32 v12, v29, v27
	s_delay_alu instid0(VALU_DEP_3) | instskip(SKIP_3) | instid1(VALU_DEP_3)
	v_fma_f32 v24, -0.5, v4, v24
	v_dual_add_f32 v4, v30, v28 :: v_dual_add_f32 v13, v32, v38
	v_sub_f32_e32 v15, v32, v38
	v_dual_sub_f32 v29, v31, v33 :: v_dual_add_f32 v2, v16, v2
	v_dual_fmac_f32 v25, -0.5, v4 :: v_dual_fmamk_f32 v4, v5, 0xbf5db3d7, v24
	v_fmac_f32_e32 v24, 0x3f5db3d7, v5
	v_fma_f32 v13, -0.5, v13, v35
	v_add_f32_e32 v3, v17, v3
	s_delay_alu instid0(VALU_DEP_4) | instskip(SKIP_1) | instid1(VALU_DEP_1)
	v_fmamk_f32 v5, v12, 0x3f5db3d7, v25
	v_dual_fmac_f32 v25, 0xbf5db3d7, v12 :: v_dual_add_f32 v12, v31, v33
	v_fma_f32 v12, -0.5, v12, v34
	s_delay_alu instid0(VALU_DEP_1)
	v_fmamk_f32 v14, v15, 0xbf5db3d7, v12
	v_dual_fmac_f32 v12, 0x3f5db3d7, v15 :: v_dual_fmamk_f32 v15, v29, 0x3f5db3d7, v13
	v_fmac_f32_e32 v13, 0xbf5db3d7, v29
	v_add_nc_u32_e32 v29, 0xae80, v64
	ds_store_2addr_b64 v29, v[24:25], v[12:13] offset0:5 offset1:248
	v_add_f32_e32 v12, v22, v52
	v_dual_add_f32 v13, v23, v20 :: v_dual_add_f32 v20, v34, v31
	v_add_f32_e32 v22, v35, v32
	ds_store_2addr_b64 v89, v[2:3], v[6:7] offset0:6 offset1:249
	ds_store_2addr_b64 v253, v[0:1], v[18:19] offset0:4 offset1:247
	v_dual_add_f32 v0, v12, v21 :: v_dual_add_f32 v1, v13, v26
	v_dual_add_f32 v2, v47, v27 :: v_dual_add_f32 v3, v53, v28
	ds_store_2addr_b64 v236, v[0:1], v[2:3] offset0:12 offset1:255
	ds_store_2addr_b64 v254, v[4:5], v[14:15] offset0:10 offset1:253
	v_dual_add_f32 v0, v20, v33 :: v_dual_add_f32 v1, v22, v38
	v_dual_add_f32 v2, v43, v39 :: v_dual_add_f32 v3, v44, v40
	ds_store_2addr_b64 v69, v[0:1], v[2:3] offset0:2 offset1:245
	ds_store_2addr_b64 v78, v[8:9], v[10:11] offset1:243
	v_dual_add_f32 v0, v45, v41 :: v_dual_add_f32 v1, v46, v42
	ds_store_b64 v64, v[0:1] offset:15552
	s_waitcnt lgkmcnt(0)
	s_barrier
	buffer_gl0_inv
	scratch_load_b64 v[5:6], off, off offset:216 ; 8-byte Folded Reload
	ds_load_2addr_b64 v[1:4], v64 offset1:243
	s_clause 0x1
	scratch_load_b64 v[9:10], off, off offset:200
	scratch_load_b64 v[13:14], off, off offset:184
	ds_load_2addr_b64 v[18:21], v89 offset0:6 offset1:249
	ds_load_2addr_b64 v[23:26], v68 offset0:12 offset1:255
	s_clause 0x5
	scratch_load_b64 v[27:28], off, off offset:144
	scratch_load_b64 v[31:32], off, off offset:128
	scratch_load_b64 v[34:35], off, off offset:104
	scratch_load_b64 v[36:37], off, off offset:72
	scratch_load_b64 v[39:40], off, off offset:48
	scratch_load_b64 v[43:44], off, off offset:24
	s_waitcnt vmcnt(8) lgkmcnt(2)
	v_mul_f32_e32 v0, v6, v2
	s_delay_alu instid0(VALU_DEP_1) | instskip(SKIP_1) | instid1(VALU_DEP_1)
	v_fmac_f32_e32 v0, v5, v1
	v_mul_f32_e32 v1, v6, v1
	v_fma_f32 v1, v5, v2, -v1
	scratch_load_b64 v[5:6], off, off offset:208 ; 8-byte Folded Reload
	s_waitcnt vmcnt(0)
	v_mul_f32_e32 v2, v6, v4
	s_delay_alu instid0(VALU_DEP_1) | instskip(SKIP_1) | instid1(VALU_DEP_1)
	v_fmac_f32_e32 v2, v5, v3
	v_mul_f32_e32 v3, v6, v3
	v_fma_f32 v3, v5, v4, -v3
	ds_load_2addr_b64 v[5:8], v75 offset0:6 offset1:249
	s_waitcnt lgkmcnt(0)
	v_mul_f32_e32 v4, v10, v6
	s_delay_alu instid0(VALU_DEP_1) | instskip(SKIP_1) | instid1(VALU_DEP_1)
	v_fmac_f32_e32 v4, v9, v5
	v_mul_f32_e32 v5, v10, v5
	v_fma_f32 v5, v9, v6, -v5
	scratch_load_b64 v[9:10], off, off offset:192 ; 8-byte Folded Reload
	s_waitcnt vmcnt(0)
	v_mul_f32_e32 v6, v10, v8
	s_delay_alu instid0(VALU_DEP_1) | instskip(SKIP_1) | instid1(VALU_DEP_1)
	v_fmac_f32_e32 v6, v9, v7
	v_mul_f32_e32 v7, v10, v7
	v_fma_f32 v7, v9, v8, -v7
	ds_load_2addr_b64 v[8:11], v77 offset0:6 offset1:249
	s_waitcnt lgkmcnt(0)
	v_mul_f32_e32 v12, v14, v9
	s_delay_alu instid0(VALU_DEP_1) | instskip(SKIP_4) | instid1(VALU_DEP_1)
	v_fmac_f32_e32 v12, v13, v8
	v_mul_f32_e32 v8, v14, v8
	scratch_load_b64 v[14:15], off, off offset:152 ; 8-byte Folded Reload
	v_cvt_f64_f32_e32 v[45:46], v12
	v_fma_f32 v13, v13, v9, -v8
	v_cvt_f64_f32_e32 v[12:13], v13
	s_delay_alu instid0(VALU_DEP_1) | instskip(SKIP_3) | instid1(VALU_DEP_2)
	v_mul_f64 v[12:13], v[12:13], s[2:3]
	s_waitcnt vmcnt(0)
	v_mul_f32_e32 v9, v15, v11
	v_mul_f32_e32 v8, v15, v10
	v_fmac_f32_e32 v9, v14, v10
	s_delay_alu instid0(VALU_DEP_2) | instskip(SKIP_4) | instid1(VALU_DEP_2)
	v_fma_f32 v10, v14, v11, -v8
	scratch_load_b64 v[14:15], off, off offset:176 ; 8-byte Folded Reload
	s_waitcnt vmcnt(0)
	v_mul_f32_e32 v17, v15, v19
	v_mul_f32_e32 v8, v15, v18
	v_fmac_f32_e32 v17, v14, v18
	s_delay_alu instid0(VALU_DEP_2)
	v_fma_f32 v16, v14, v19, -v8
	s_clause 0x1
	scratch_load_b64 v[14:15], off, off offset:168
	scratch_load_b64 v[18:19], off, off offset:136
	s_waitcnt vmcnt(1)
	v_mul_f32_e32 v8, v15, v21
	v_mul_f32_e32 v11, v15, v20
	s_waitcnt vmcnt(0)
	v_mul_f32_e32 v22, v19, v24
	s_delay_alu instid0(VALU_DEP_3) | instskip(NEXT) | instid1(VALU_DEP_3)
	v_fmac_f32_e32 v8, v14, v20
	v_fma_f32 v14, v14, v21, -v11
	v_mul_f32_e32 v11, v19, v23
	s_delay_alu instid0(VALU_DEP_4) | instskip(NEXT) | instid1(VALU_DEP_2)
	v_fmac_f32_e32 v22, v18, v23
	v_fma_f32 v20, v18, v24, -v11
	scratch_load_b64 v[18:19], off, off offset:160 ; 8-byte Folded Reload
	s_waitcnt vmcnt(0)
	v_mul_f32_e32 v11, v19, v26
	v_mul_f32_e32 v15, v19, v25
	s_delay_alu instid0(VALU_DEP_2) | instskip(NEXT) | instid1(VALU_DEP_2)
	v_fmac_f32_e32 v11, v18, v25
	v_fma_f32 v15, v18, v26, -v15
	ds_load_2addr_b64 v[23:26], v253 offset0:4 offset1:247
	v_cvt_f64_f32_e32 v[47:48], v11
	s_waitcnt lgkmcnt(0)
	v_mul_f32_e32 v21, v28, v24
	v_mul_f32_e32 v18, v28, v23
	s_delay_alu instid0(VALU_DEP_2) | instskip(NEXT) | instid1(VALU_DEP_2)
	v_fmac_f32_e32 v21, v27, v23
	v_fma_f32 v23, v27, v24, -v18
	scratch_load_b64 v[27:28], off, off offset:120 ; 8-byte Folded Reload
	s_waitcnt vmcnt(0)
	v_mul_f32_e32 v24, v28, v26
	v_mul_f32_e32 v18, v28, v25
	s_delay_alu instid0(VALU_DEP_2) | instskip(NEXT) | instid1(VALU_DEP_2)
	v_fmac_f32_e32 v24, v27, v25
	v_fma_f32 v25, v27, v26, -v18
	ds_load_2addr_b64 v[27:30], v236 offset0:12 offset1:255
	s_waitcnt lgkmcnt(0)
	v_mul_f32_e32 v26, v32, v28
	v_mul_f32_e32 v18, v32, v27
	s_delay_alu instid0(VALU_DEP_2) | instskip(NEXT) | instid1(VALU_DEP_2)
	v_fmac_f32_e32 v26, v31, v27
	v_fma_f32 v27, v31, v28, -v18
	scratch_load_b64 v[31:32], off, off offset:112 ; 8-byte Folded Reload
	s_waitcnt vmcnt(0)
	v_mul_f32_e32 v19, v32, v30
	v_mul_f32_e32 v18, v32, v29
	s_delay_alu instid0(VALU_DEP_2) | instskip(NEXT) | instid1(VALU_DEP_2)
	v_fmac_f32_e32 v19, v31, v29
	v_fma_f32 v28, v31, v30, -v18
	ds_load_2addr_b64 v[30:33], v67 offset0:2 offset1:245
	;; [unrolled: 14-line block ×3, first 2 shown]
	s_waitcnt lgkmcnt(0)
	v_mul_f32_e32 v50, v37, v33
	v_mul_f32_e32 v18, v37, v32
	s_delay_alu instid0(VALU_DEP_2) | instskip(NEXT) | instid1(VALU_DEP_2)
	v_fmac_f32_e32 v50, v36, v32
	v_fma_f32 v51, v36, v33, -v18
	scratch_load_b64 v[36:37], off, off offset:80 ; 8-byte Folded Reload
	s_waitcnt vmcnt(0)
	v_mul_f32_e32 v32, v37, v35
	v_mul_f32_e32 v18, v37, v34
	scratch_load_b64 v[37:38], off, off offset:64 ; 8-byte Folded Reload
	v_fmac_f32_e32 v32, v36, v34
	v_fma_f32 v52, v36, v35, -v18
	ds_load_2addr_b64 v[33:36], v69 offset0:2 offset1:245
	s_waitcnt vmcnt(0) lgkmcnt(0)
	v_mul_f32_e32 v53, v38, v34
	v_mul_f32_e32 v18, v38, v33
	s_delay_alu instid0(VALU_DEP_2) | instskip(NEXT) | instid1(VALU_DEP_2)
	v_fmac_f32_e32 v53, v37, v33
	v_fma_f32 v54, v37, v34, -v18
	s_clause 0x1
	scratch_load_b64 v[33:34], off, off offset:88
	scratch_load_b64 v[37:38], off, off offset:56
	s_waitcnt vmcnt(1)
	v_mul_f32_e32 v55, v34, v36
	v_mul_f32_e32 v18, v34, v35
	s_delay_alu instid0(VALU_DEP_2) | instskip(NEXT) | instid1(VALU_DEP_2)
	v_fmac_f32_e32 v55, v33, v35
	v_fma_f32 v56, v33, v36, -v18
	ds_load_2addr_b64 v[33:36], v65 offset0:8 offset1:251
	s_waitcnt vmcnt(0) lgkmcnt(0)
	v_mul_f32_e32 v57, v38, v34
	v_mul_f32_e32 v18, v38, v33
	v_mov_b32_e32 v38, v37
	v_mul_f32_e32 v58, v40, v36
	v_mul_f32_e32 v37, v40, v35
	scratch_load_b64 v[40:41], off, off offset:40 ; 8-byte Folded Reload
	v_fmac_f32_e32 v57, v38, v33
	v_fma_f32 v59, v38, v34, -v18
	v_fmac_f32_e32 v58, v39, v35
	v_fma_f32 v60, v39, v36, -v37
	scratch_load_b64 v[38:39], off, off offset:16 ; 8-byte Folded Reload
	ds_load_2addr_b64 v[33:36], v90 offset0:8 offset1:251
	s_waitcnt vmcnt(1) lgkmcnt(0)
	v_mul_f32_e32 v61, v41, v34
	s_waitcnt vmcnt(0)
	s_delay_alu instid0(VALU_DEP_1) | instskip(SKIP_1) | instid1(VALU_DEP_2)
	v_dual_fmac_f32 v61, v40, v33 :: v_dual_mul_f32 v18, v39, v36
	v_mul_f32_e32 v37, v39, v35
	v_dual_mul_f32 v39, v41, v33 :: v_dual_fmac_f32 v18, v38, v35
	s_delay_alu instid0(VALU_DEP_2)
	v_fma_f32 v41, v38, v36, -v37
	ds_load_2addr_b64 v[35:38], v78 offset1:243
	v_fma_f32 v62, v40, v34, -v39
	v_cvt_f64_f32_e32 v[33:34], v0
	v_cvt_f64_f32_e32 v[39:40], v18
	;; [unrolled: 1-line block ×4, first 2 shown]
	s_waitcnt lgkmcnt(0)
	v_mul_f32_e32 v63, v44, v36
	v_mul_f32_e32 v18, v44, v35
	s_delay_alu instid0(VALU_DEP_2) | instskip(NEXT) | instid1(VALU_DEP_2)
	v_fmac_f32_e32 v63, v43, v35
	v_fma_f32 v65, v43, v36, -v18
	scratch_load_b64 v[35:36], off, off offset:32 ; 8-byte Folded Reload
	v_cvt_f64_f32_e32 v[43:44], v2
	v_cvt_f64_f32_e32 v[2:3], v3
	v_mul_f64 v[33:34], v[33:34], s[2:3]
	v_mul_f64 v[0:1], v[0:1], s[2:3]
	s_delay_alu instid0(VALU_DEP_2) | instskip(NEXT) | instid1(VALU_DEP_2)
	v_cvt_f32_f64_e32 v33, v[33:34]
	v_cvt_f32_f64_e32 v34, v[0:1]
	s_waitcnt vmcnt(0)
	v_mul_f32_e32 v66, v36, v38
	v_mul_f32_e32 v18, v36, v37
	s_delay_alu instid0(VALU_DEP_2) | instskip(NEXT) | instid1(VALU_DEP_2)
	v_fmac_f32_e32 v66, v35, v37
	v_fma_f32 v67, v35, v38, -v18
	scratch_load_b64 v[35:36], off, off     ; 8-byte Folded Reload
	s_waitcnt vmcnt(0)
	v_mov_b32_e32 v38, v35
	s_delay_alu instid0(VALU_DEP_1) | instskip(SKIP_1) | instid1(SALU_CYCLE_1)
	v_mad_u64_u32 v[35:36], null, s6, v38, 0
	s_mul_hi_u32 s6, s4, 0xffff7ee8
	s_sub_i32 s6, s6, s4
	s_delay_alu instid0(VALU_DEP_1) | instskip(NEXT) | instid1(VALU_DEP_1)
	v_mov_b32_e32 v18, v36
	v_mad_u64_u32 v[36:37], null, s7, v38, v[18:19]
	scratch_load_b32 v18, off, off offset:224 ; 4-byte Folded Reload
	v_mul_f64 v[37:38], v[39:40], s[2:3]
	v_mul_f64 v[39:40], v[41:42], s[2:3]
	v_cvt_f64_f32_e32 v[41:42], v4
	v_cvt_f64_f32_e32 v[4:5], v5
	v_lshlrev_b64 v[35:36], 3, v[35:36]
	v_cvt_f32_f64_e32 v37, v[37:38]
	v_cvt_f32_f64_e32 v38, v[39:40]
	s_delay_alu instid0(VALU_DEP_4) | instskip(SKIP_2) | instid1(VALU_DEP_1)
	v_mul_f64 v[4:5], v[4:5], s[2:3]
	s_waitcnt vmcnt(0)
	v_mad_u64_u32 v[0:1], null, s4, v18, 0
	v_mad_u64_u32 v[39:40], null, s5, v18, v[1:2]
	v_mul_f64 v[40:41], v[41:42], s[2:3]
	v_mul_f64 v[2:3], v[2:3], s[2:3]
	;; [unrolled: 1-line block ×4, first 2 shown]
	v_add_co_u32 v18, vcc_lo, s0, v35
	v_mov_b32_e32 v1, v39
	v_add_co_ci_u32_e32 v35, vcc_lo, s1, v36, vcc_lo
	s_mul_i32 s0, s5, 0x4458
	s_mul_hi_u32 s1, s4, 0x4458
	s_delay_alu instid0(VALU_DEP_2)
	v_lshlrev_b64 v[0:1], 3, v[0:1]
	s_add_i32 s0, s1, s0
	s_mul_i32 s1, s4, 0x4458
	s_mul_i32 s5, s5, 0xffff7ee8
	;; [unrolled: 1-line block ×3, first 2 shown]
	s_add_i32 s5, s6, s5
	v_add_co_u32 v0, vcc_lo, v18, v0
	v_add_co_ci_u32_e32 v1, vcc_lo, v35, v1, vcc_lo
	v_cvt_f64_f32_e32 v[17:18], v17
	v_cvt_f64_f32_e32 v[35:36], v16
	global_store_b64 v[0:1], v[33:34], off
	v_cvt_f64_f32_e32 v[33:34], v6
	v_cvt_f64_f32_e32 v[6:7], v7
	v_add_co_u32 v0, vcc_lo, v0, s1
	v_add_co_ci_u32_e32 v1, vcc_lo, s0, v1, vcc_lo
	global_store_b64 v[0:1], v[37:38], off
	v_cvt_f64_f32_e32 v[37:38], v22
	v_cvt_f64_f32_e32 v[22:23], v23
	v_add_co_u32 v0, vcc_lo, v0, s1
	v_cvt_f32_f64_e32 v39, v[40:41]
	v_cvt_f32_f64_e32 v40, v[4:5]
	v_cvt_f32_f64_e32 v5, v[2:3]
	v_cvt_f32_f64_e32 v3, v[12:13]
	v_cvt_f64_f32_e32 v[12:13], v9
	v_cvt_f64_f32_e32 v[9:10], v10
	v_cvt_f32_f64_e32 v4, v[42:43]
	v_cvt_f64_f32_e32 v[41:42], v20
	v_cvt_f32_f64_e32 v2, v[44:45]
	v_cvt_f64_f32_e32 v[43:44], v8
	v_cvt_f64_f32_e32 v[45:46], v14
	;; [unrolled: 1-line block ×4, first 2 shown]
	v_add_co_ci_u32_e32 v1, vcc_lo, s0, v1, vcc_lo
	v_mul_f64 v[16:17], v[17:18], s[2:3]
	v_mul_f64 v[35:36], v[35:36], s[2:3]
	;; [unrolled: 1-line block ×6, first 2 shown]
	global_store_b64 v[0:1], v[39:40], off
	v_add_co_u32 v0, vcc_lo, v0, s4
	v_mul_f64 v[11:12], v[12:13], s[2:3]
	v_mul_f64 v[8:9], v[9:10], s[2:3]
	v_add_co_ci_u32_e32 v1, vcc_lo, s5, v1, vcc_lo
	v_mul_f64 v[39:40], v[41:42], s[2:3]
	v_mul_f64 v[41:42], v[43:44], s[2:3]
	;; [unrolled: 1-line block ×6, first 2 shown]
	global_store_b64 v[0:1], v[4:5], off
	v_add_co_u32 v0, vcc_lo, v0, s1
	v_cvt_f64_f32_e32 v[47:48], v26
	v_add_co_ci_u32_e32 v1, vcc_lo, s0, v1, vcc_lo
	v_cvt_f64_f32_e32 v[26:27], v27
	global_store_b64 v[0:1], v[2:3], off
	v_cvt_f32_f64_e32 v4, v[33:34]
	v_cvt_f32_f64_e32 v5, v[6:7]
	;; [unrolled: 1-line block ×4, first 2 shown]
	v_cvt_f64_f32_e32 v[15:16], v24
	v_cvt_f64_f32_e32 v[17:18], v25
	;; [unrolled: 1-line block ×5, first 2 shown]
	v_add_co_u32 v33, vcc_lo, v0, s1
	v_add_co_ci_u32_e32 v34, vcc_lo, s0, v1, vcc_lo
	v_cvt_f32_f64_e32 v10, v[11:12]
	v_cvt_f32_f64_e32 v11, v[8:9]
	;; [unrolled: 1-line block ×3, first 2 shown]
	v_cvt_f64_f32_e32 v[37:38], v28
	v_cvt_f32_f64_e32 v9, v[39:40]
	v_cvt_f32_f64_e32 v39, v[41:42]
	;; [unrolled: 1-line block ×7, first 2 shown]
	v_add_co_u32 v41, vcc_lo, v33, s4
	v_add_co_ci_u32_e32 v42, vcc_lo, s5, v34, vcc_lo
	v_mul_f64 v[21:22], v[47:48], s[2:3]
	s_delay_alu instid0(VALU_DEP_3) | instskip(NEXT) | instid1(VALU_DEP_3)
	v_add_co_u32 v0, vcc_lo, v41, s1
	v_add_co_ci_u32_e32 v1, vcc_lo, s0, v42, vcc_lo
	v_mul_f64 v[26:27], v[26:27], s[2:3]
	s_delay_alu instid0(VALU_DEP_3) | instskip(NEXT) | instid1(VALU_DEP_3)
	v_add_co_u32 v2, vcc_lo, v0, s1
	v_add_co_ci_u32_e32 v3, vcc_lo, s0, v1, vcc_lo
	global_store_b64 v[33:34], v[4:5], off
	v_add_co_u32 v4, vcc_lo, v2, s4
	v_add_co_ci_u32_e32 v5, vcc_lo, s5, v3, vcc_lo
	global_store_b64 v[41:42], v[6:7], off
	v_add_co_u32 v28, vcc_lo, v4, s1
	v_mul_f64 v[6:7], v[15:16], s[2:3]
	v_mul_f64 v[14:15], v[17:18], s[2:3]
	;; [unrolled: 1-line block ×4, first 2 shown]
	v_add_co_ci_u32_e32 v29, vcc_lo, s0, v5, vcc_lo
	v_mul_f64 v[33:34], v[35:36], s[2:3]
	v_cvt_f64_f32_e32 v[41:42], v56
	v_mul_f64 v[35:36], v[37:38], s[2:3]
	v_add_co_u32 v37, vcc_lo, v28, s1
	v_add_co_ci_u32_e32 v38, vcc_lo, s0, v29, vcc_lo
	global_store_b64 v[0:1], v[10:11], off
	global_store_b64 v[2:3], v[8:9], off
	;; [unrolled: 1-line block ×5, first 2 shown]
	v_cvt_f64_f32_e32 v[12:13], v49
	scratch_load_b64 v[48:49], off, off offset:8 ; 8-byte Folded Reload
	v_cvt_f64_f32_e32 v[2:3], v50
	v_cvt_f64_f32_e32 v[4:5], v51
	ds_load_b64 v[8:9], v64 offset:50544
	v_cvt_f64_f32_e32 v[10:11], v31
	v_cvt_f32_f64_e32 v0, v[21:22]
	v_cvt_f64_f32_e32 v[18:19], v53
	v_cvt_f64_f32_e32 v[20:21], v54
	;; [unrolled: 1-line block ×4, first 2 shown]
	v_cvt_f32_f64_e32 v1, v[26:27]
	v_cvt_f64_f32_e32 v[25:26], v32
	v_cvt_f64_f32_e32 v[27:28], v52
	v_cvt_f64_f32_e32 v[31:32], v59
	v_cvt_f64_f32_e32 v[43:44], v65
	v_cvt_f64_f32_e32 v[45:46], v60
	v_add_co_u32 v37, vcc_lo, v37, s4
	v_add_co_ci_u32_e32 v38, vcc_lo, s5, v38, vcc_lo
	s_delay_alu instid0(VALU_DEP_2)
	v_add_co_u32 v55, vcc_lo, v37, s1
	v_cvt_f32_f64_e32 v6, v[6:7]
	v_cvt_f32_f64_e32 v7, v[14:15]
	;; [unrolled: 1-line block ×4, first 2 shown]
	v_cvt_f64_f32_e32 v[14:15], v63
	v_cvt_f64_f32_e32 v[22:23], v58
	v_cvt_f32_f64_e32 v33, v[33:34]
	v_add_co_ci_u32_e32 v56, vcc_lo, s0, v38, vcc_lo
	v_cvt_f32_f64_e32 v34, v[35:36]
	v_cvt_f64_f32_e32 v[35:36], v62
	v_add_co_u32 v57, vcc_lo, v55, s1
	s_delay_alu instid0(VALU_DEP_4)
	v_add_co_ci_u32_e32 v58, vcc_lo, s0, v56, vcc_lo
	v_mul_f64 v[12:13], v[12:13], s[2:3]
	v_mul_f64 v[2:3], v[2:3], s[2:3]
	;; [unrolled: 1-line block ×5, first 2 shown]
	v_add_co_u32 v59, vcc_lo, v57, s4
	v_mul_f64 v[18:19], v[18:19], s[2:3]
	v_mul_f64 v[20:21], v[20:21], s[2:3]
	;; [unrolled: 1-line block ×3, first 2 shown]
	v_add_co_ci_u32_e32 v60, vcc_lo, s5, v58, vcc_lo
	global_store_b64 v[37:38], v[0:1], off
	global_store_b64 v[55:56], v[6:7], off
	;; [unrolled: 1-line block ×4, first 2 shown]
	v_mul_f64 v[14:15], v[14:15], s[2:3]
	v_mul_f64 v[43:44], v[43:44], s[2:3]
	;; [unrolled: 1-line block ×5, first 2 shown]
	v_cvt_f32_f64_e32 v2, v[2:3]
	v_cvt_f32_f64_e32 v3, v[4:5]
	v_add_co_u32 v4, vcc_lo, v59, s1
	v_cvt_f32_f64_e32 v10, v[10:11]
	v_cvt_f32_f64_e32 v11, v[12:13]
	v_add_co_ci_u32_e32 v5, vcc_lo, s0, v60, vcc_lo
	v_cvt_f32_f64_e32 v12, v[18:19]
	v_cvt_f32_f64_e32 v13, v[20:21]
	;; [unrolled: 1-line block ×6, first 2 shown]
	global_store_b64 v[4:5], v[2:3], off
	s_waitcnt vmcnt(0) lgkmcnt(0)
	v_mul_f32_e32 v24, v49, v9
	v_mul_f32_e32 v47, v49, v8
	v_cvt_f64_f32_e32 v[49:50], v67
	s_delay_alu instid0(VALU_DEP_3) | instskip(NEXT) | instid1(VALU_DEP_3)
	v_fmac_f32_e32 v24, v48, v8
	v_fma_f32 v53, v48, v9, -v47
	v_cvt_f64_f32_e32 v[8:9], v61
	v_cvt_f64_f32_e32 v[47:48], v66
	s_delay_alu instid0(VALU_DEP_4) | instskip(NEXT) | instid1(VALU_DEP_4)
	v_cvt_f64_f32_e32 v[51:52], v24
	v_cvt_f64_f32_e32 v[53:54], v53
	v_mul_f64 v[24:25], v[25:26], s[2:3]
	v_mul_f64 v[26:27], v[27:28], s[2:3]
	;; [unrolled: 1-line block ×9, first 2 shown]
	v_cvt_f32_f64_e32 v18, v[24:25]
	v_cvt_f32_f64_e32 v19, v[26:27]
	v_add_co_u32 v26, vcc_lo, v4, s1
	v_cvt_f32_f64_e32 v20, v[28:29]
	v_cvt_f32_f64_e32 v21, v[30:31]
	v_add_co_ci_u32_e32 v27, vcc_lo, s0, v5, vcc_lo
	s_delay_alu instid0(VALU_DEP_4) | instskip(SKIP_2) | instid1(VALU_DEP_4)
	v_add_co_u32 v28, vcc_lo, v26, s4
	v_cvt_f32_f64_e32 v24, v[39:40]
	v_cvt_f32_f64_e32 v25, v[41:42]
	v_add_co_ci_u32_e32 v29, vcc_lo, s5, v27, vcc_lo
	s_delay_alu instid0(VALU_DEP_4)
	v_add_co_u32 v30, vcc_lo, v28, s1
	global_store_b64 v[26:27], v[10:11], off
	v_add_co_ci_u32_e32 v31, vcc_lo, s0, v29, vcc_lo
	global_store_b64 v[28:29], v[12:13], off
	v_cvt_f32_f64_e32 v0, v[0:1]
	v_cvt_f32_f64_e32 v1, v[6:7]
	;; [unrolled: 1-line block ×6, first 2 shown]
	v_add_co_u32 v16, vcc_lo, v30, s1
	v_add_co_ci_u32_e32 v17, vcc_lo, s0, v31, vcc_lo
	global_store_b64 v[30:31], v[18:19], off
	v_add_co_u32 v2, vcc_lo, v16, s4
	v_add_co_ci_u32_e32 v3, vcc_lo, s5, v17, vcc_lo
	global_store_b64 v[16:17], v[20:21], off
	v_add_co_u32 v4, vcc_lo, v2, s1
	v_add_co_ci_u32_e32 v5, vcc_lo, s0, v3, vcc_lo
	global_store_b64 v[2:3], v[24:25], off
	v_add_co_u32 v10, vcc_lo, v4, s1
	v_add_co_ci_u32_e32 v11, vcc_lo, s0, v5, vcc_lo
	s_delay_alu instid0(VALU_DEP_2) | instskip(NEXT) | instid1(VALU_DEP_2)
	v_add_co_u32 v12, vcc_lo, v10, s4
	v_add_co_ci_u32_e32 v13, vcc_lo, s5, v11, vcc_lo
	s_delay_alu instid0(VALU_DEP_2) | instskip(NEXT) | instid1(VALU_DEP_2)
	v_add_co_u32 v16, vcc_lo, v12, s1
	v_add_co_ci_u32_e32 v17, vcc_lo, s0, v13, vcc_lo
	s_delay_alu instid0(VALU_DEP_2) | instskip(NEXT) | instid1(VALU_DEP_2)
	v_add_co_u32 v2, vcc_lo, v16, s1
	v_add_co_ci_u32_e32 v3, vcc_lo, s0, v17, vcc_lo
	global_store_b64 v[4:5], v[14:15], off
	global_store_b64 v[10:11], v[22:23], off
	;; [unrolled: 1-line block ×5, first 2 shown]
.LBB0_2:
	s_nop 0
	s_sendmsg sendmsg(MSG_DEALLOC_VGPRS)
	s_endpgm
	.section	.rodata,"a",@progbits
	.p2align	6, 0x0
	.amdhsa_kernel bluestein_single_fwd_len6561_dim1_sp_op_CI_CI
		.amdhsa_group_segment_fixed_size 52488
		.amdhsa_private_segment_fixed_size 728
		.amdhsa_kernarg_size 104
		.amdhsa_user_sgpr_count 15
		.amdhsa_user_sgpr_dispatch_ptr 0
		.amdhsa_user_sgpr_queue_ptr 0
		.amdhsa_user_sgpr_kernarg_segment_ptr 1
		.amdhsa_user_sgpr_dispatch_id 0
		.amdhsa_user_sgpr_private_segment_size 0
		.amdhsa_wavefront_size32 1
		.amdhsa_uses_dynamic_stack 0
		.amdhsa_enable_private_segment 1
		.amdhsa_system_sgpr_workgroup_id_x 1
		.amdhsa_system_sgpr_workgroup_id_y 0
		.amdhsa_system_sgpr_workgroup_id_z 0
		.amdhsa_system_sgpr_workgroup_info 0
		.amdhsa_system_vgpr_workitem_id 0
		.amdhsa_next_free_vgpr 256
		.amdhsa_next_free_sgpr 20
		.amdhsa_reserve_vcc 1
		.amdhsa_float_round_mode_32 0
		.amdhsa_float_round_mode_16_64 0
		.amdhsa_float_denorm_mode_32 3
		.amdhsa_float_denorm_mode_16_64 3
		.amdhsa_dx10_clamp 1
		.amdhsa_ieee_mode 1
		.amdhsa_fp16_overflow 0
		.amdhsa_workgroup_processor_mode 1
		.amdhsa_memory_ordered 1
		.amdhsa_forward_progress 0
		.amdhsa_shared_vgpr_count 0
		.amdhsa_exception_fp_ieee_invalid_op 0
		.amdhsa_exception_fp_denorm_src 0
		.amdhsa_exception_fp_ieee_div_zero 0
		.amdhsa_exception_fp_ieee_overflow 0
		.amdhsa_exception_fp_ieee_underflow 0
		.amdhsa_exception_fp_ieee_inexact 0
		.amdhsa_exception_int_div_zero 0
	.end_amdhsa_kernel
	.text
.Lfunc_end0:
	.size	bluestein_single_fwd_len6561_dim1_sp_op_CI_CI, .Lfunc_end0-bluestein_single_fwd_len6561_dim1_sp_op_CI_CI
                                        ; -- End function
	.section	.AMDGPU.csdata,"",@progbits
; Kernel info:
; codeLenInByte = 38392
; NumSgprs: 22
; NumVgprs: 256
; ScratchSize: 728
; MemoryBound: 0
; FloatMode: 240
; IeeeMode: 1
; LDSByteSize: 52488 bytes/workgroup (compile time only)
; SGPRBlocks: 2
; VGPRBlocks: 31
; NumSGPRsForWavesPerEU: 22
; NumVGPRsForWavesPerEU: 256
; Occupancy: 4
; WaveLimiterHint : 1
; COMPUTE_PGM_RSRC2:SCRATCH_EN: 1
; COMPUTE_PGM_RSRC2:USER_SGPR: 15
; COMPUTE_PGM_RSRC2:TRAP_HANDLER: 0
; COMPUTE_PGM_RSRC2:TGID_X_EN: 1
; COMPUTE_PGM_RSRC2:TGID_Y_EN: 0
; COMPUTE_PGM_RSRC2:TGID_Z_EN: 0
; COMPUTE_PGM_RSRC2:TIDIG_COMP_CNT: 0
	.text
	.p2alignl 7, 3214868480
	.fill 96, 4, 3214868480
	.type	__hip_cuid_dec17e43ac17152a,@object ; @__hip_cuid_dec17e43ac17152a
	.section	.bss,"aw",@nobits
	.globl	__hip_cuid_dec17e43ac17152a
__hip_cuid_dec17e43ac17152a:
	.byte	0                               ; 0x0
	.size	__hip_cuid_dec17e43ac17152a, 1

	.ident	"AMD clang version 19.0.0git (https://github.com/RadeonOpenCompute/llvm-project roc-6.4.0 25133 c7fe45cf4b819c5991fe208aaa96edf142730f1d)"
	.section	".note.GNU-stack","",@progbits
	.addrsig
	.addrsig_sym __hip_cuid_dec17e43ac17152a
	.amdgpu_metadata
---
amdhsa.kernels:
  - .args:
      - .actual_access:  read_only
        .address_space:  global
        .offset:         0
        .size:           8
        .value_kind:     global_buffer
      - .actual_access:  read_only
        .address_space:  global
        .offset:         8
        .size:           8
        .value_kind:     global_buffer
      - .actual_access:  read_only
        .address_space:  global
        .offset:         16
        .size:           8
        .value_kind:     global_buffer
      - .actual_access:  read_only
        .address_space:  global
        .offset:         24
        .size:           8
        .value_kind:     global_buffer
      - .actual_access:  read_only
        .address_space:  global
        .offset:         32
        .size:           8
        .value_kind:     global_buffer
      - .offset:         40
        .size:           8
        .value_kind:     by_value
      - .address_space:  global
        .offset:         48
        .size:           8
        .value_kind:     global_buffer
      - .address_space:  global
        .offset:         56
        .size:           8
        .value_kind:     global_buffer
      - .address_space:  global
        .offset:         64
        .size:           8
        .value_kind:     global_buffer
      - .address_space:  global
        .offset:         72
        .size:           8
        .value_kind:     global_buffer
      - .offset:         80
        .size:           4
        .value_kind:     by_value
      - .address_space:  global
        .offset:         88
        .size:           8
        .value_kind:     global_buffer
      - .address_space:  global
        .offset:         96
        .size:           8
        .value_kind:     global_buffer
    .group_segment_fixed_size: 52488
    .kernarg_segment_align: 8
    .kernarg_segment_size: 104
    .language:       OpenCL C
    .language_version:
      - 2
      - 0
    .max_flat_workgroup_size: 243
    .name:           bluestein_single_fwd_len6561_dim1_sp_op_CI_CI
    .private_segment_fixed_size: 728
    .sgpr_count:     22
    .sgpr_spill_count: 0
    .symbol:         bluestein_single_fwd_len6561_dim1_sp_op_CI_CI.kd
    .uniform_work_group_size: 1
    .uses_dynamic_stack: false
    .vgpr_count:     256
    .vgpr_spill_count: 181
    .wavefront_size: 32
    .workgroup_processor_mode: 1
amdhsa.target:   amdgcn-amd-amdhsa--gfx1100
amdhsa.version:
  - 1
  - 2
...

	.end_amdgpu_metadata
